;; amdgpu-corpus repo=ROCm/rocFFT kind=compiled arch=gfx1201 opt=O3
	.text
	.amdgcn_target "amdgcn-amd-amdhsa--gfx1201"
	.amdhsa_code_object_version 6
	.protected	bluestein_single_back_len1530_dim1_half_op_CI_CI ; -- Begin function bluestein_single_back_len1530_dim1_half_op_CI_CI
	.globl	bluestein_single_back_len1530_dim1_half_op_CI_CI
	.p2align	8
	.type	bluestein_single_back_len1530_dim1_half_op_CI_CI,@function
bluestein_single_back_len1530_dim1_half_op_CI_CI: ; @bluestein_single_back_len1530_dim1_half_op_CI_CI
; %bb.0:
	s_load_b128 s[4:7], s[0:1], 0x28
	v_mul_u32_u24_e32 v1, 0x283, v0
	s_mov_b32 s2, exec_lo
	v_mov_b32_e32 v212, 0
	s_delay_alu instid0(VALU_DEP_2) | instskip(NEXT) | instid1(VALU_DEP_1)
	v_lshrrev_b32_e32 v1, 16, v1
	v_add_nc_u32_e32 v211, ttmp9, v1
	s_wait_kmcnt 0x0
	s_delay_alu instid0(VALU_DEP_1)
	v_cmpx_gt_u64_e64 s[4:5], v[211:212]
	s_cbranch_execz .LBB0_23
; %bb.1:
	s_clause 0x1
	s_load_b64 s[12:13], s[0:1], 0x0
	s_load_b64 s[14:15], s[0:1], 0x38
	v_mul_lo_u16 v1, 0x66, v1
	s_delay_alu instid0(VALU_DEP_1) | instskip(NEXT) | instid1(VALU_DEP_1)
	v_sub_nc_u16 v0, v0, v1
	v_and_b32_e32 v56, 0xffff, v0
	v_cmp_gt_u16_e32 vcc_lo, 0x5a, v0
	s_delay_alu instid0(VALU_DEP_2)
	v_lshlrev_b32_e32 v55, 2, v56
	s_and_saveexec_b32 s3, vcc_lo
	s_cbranch_execz .LBB0_3
; %bb.2:
	s_load_b64 s[4:5], s[0:1], 0x18
	s_delay_alu instid0(VALU_DEP_1)
	v_add_nc_u32_e32 v37, 0x800, v55
	v_add_nc_u32_e32 v39, 0xc00, v55
	;; [unrolled: 1-line block ×3, first 2 shown]
	s_wait_kmcnt 0x0
	s_load_b128 s[8:11], s[4:5], 0x0
	s_wait_kmcnt 0x0
	v_mad_co_u64_u32 v[0:1], null, s10, v211, 0
	v_mad_co_u64_u32 v[2:3], null, s8, v56, 0
	s_mul_u64 s[4:5], s[8:9], 0x168
	s_delay_alu instid0(VALU_DEP_1) | instskip(NEXT) | instid1(VALU_DEP_2)
	v_mad_co_u64_u32 v[4:5], null, s11, v211, v[1:2]
	v_mov_b32_e32 v1, v3
	s_delay_alu instid0(VALU_DEP_1) | instskip(NEXT) | instid1(VALU_DEP_3)
	v_mad_co_u64_u32 v[5:6], null, s9, v56, v[1:2]
	v_mov_b32_e32 v1, v4
	s_clause 0x7
	global_load_b32 v4, v55, s[12:13]
	global_load_b32 v6, v55, s[12:13] offset:360
	global_load_b32 v7, v55, s[12:13] offset:720
	;; [unrolled: 1-line block ×7, first 2 shown]
	v_lshlrev_b64_e32 v[0:1], 2, v[0:1]
	v_mov_b32_e32 v3, v5
	s_clause 0x8
	global_load_b32 v5, v55, s[12:13] offset:2880
	global_load_b32 v13, v55, s[12:13] offset:3240
	global_load_b32 v14, v55, s[12:13] offset:3600
	global_load_b32 v15, v55, s[12:13] offset:3960
	global_load_b32 v16, v55, s[12:13] offset:4320
	global_load_b32 v17, v55, s[12:13] offset:4680
	global_load_b32 v18, v55, s[12:13] offset:5040
	global_load_b32 v19, v55, s[12:13] offset:5400
	global_load_b32 v20, v55, s[12:13] offset:5760
	v_lshlrev_b64_e32 v[2:3], 2, v[2:3]
	v_add_co_u32 v0, s2, s6, v0
	s_delay_alu instid0(VALU_DEP_1) | instskip(NEXT) | instid1(VALU_DEP_2)
	v_add_co_ci_u32_e64 v1, s2, s7, v1, s2
	v_add_co_u32 v0, s2, v0, v2
	s_wait_alu 0xf1ff
	s_delay_alu instid0(VALU_DEP_2) | instskip(SKIP_1) | instid1(VALU_DEP_2)
	v_add_co_ci_u32_e64 v1, s2, v1, v3, s2
	s_wait_alu 0xfffe
	v_add_co_u32 v2, s2, v0, s4
	s_wait_alu 0xf1ff
	s_delay_alu instid0(VALU_DEP_2)
	v_add_co_ci_u32_e64 v3, s2, s5, v1, s2
	s_clause 0x1
	global_load_b32 v21, v[0:1], off
	global_load_b32 v22, v[2:3], off
	v_add_co_u32 v0, s2, v2, s4
	s_wait_alu 0xf1ff
	v_add_co_ci_u32_e64 v1, s2, s5, v3, s2
	s_delay_alu instid0(VALU_DEP_2) | instskip(SKIP_1) | instid1(VALU_DEP_2)
	v_add_co_u32 v2, s2, v0, s4
	s_wait_alu 0xf1ff
	v_add_co_ci_u32_e64 v3, s2, s5, v1, s2
	s_clause 0x1
	global_load_b32 v23, v[0:1], off
	global_load_b32 v25, v[2:3], off
	v_add_co_u32 v0, s2, v2, s4
	s_wait_alu 0xf1ff
	v_add_co_ci_u32_e64 v1, s2, s5, v3, s2
	s_delay_alu instid0(VALU_DEP_2) | instskip(SKIP_1) | instid1(VALU_DEP_2)
	v_add_co_u32 v2, s2, v0, s4
	s_wait_alu 0xf1ff
	v_add_co_ci_u32_e64 v3, s2, s5, v1, s2
	global_load_b32 v26, v[0:1], off
	global_load_b32 v27, v[2:3], off
	v_add_co_u32 v0, s2, v2, s4
	s_wait_alu 0xf1ff
	v_add_co_ci_u32_e64 v1, s2, s5, v3, s2
	s_delay_alu instid0(VALU_DEP_2) | instskip(SKIP_1) | instid1(VALU_DEP_2)
	v_add_co_u32 v2, s2, v0, s4
	s_wait_alu 0xf1ff
	v_add_co_ci_u32_e64 v3, s2, s5, v1, s2
	global_load_b32 v28, v[0:1], off
	v_add_co_u32 v0, s2, v2, s4
	s_wait_alu 0xf1ff
	v_add_co_ci_u32_e64 v1, s2, s5, v3, s2
	global_load_b32 v29, v[2:3], off
	global_load_b32 v30, v[0:1], off
	v_add_co_u32 v0, s2, v0, s4
	s_wait_alu 0xf1ff
	v_add_co_ci_u32_e64 v1, s2, s5, v1, s2
	s_delay_alu instid0(VALU_DEP_2) | instskip(SKIP_1) | instid1(VALU_DEP_2)
	v_add_co_u32 v2, s2, v0, s4
	s_wait_alu 0xf1ff
	v_add_co_ci_u32_e64 v3, s2, s5, v1, s2
	global_load_b32 v31, v[0:1], off
	v_add_co_u32 v0, s2, v2, s4
	s_wait_alu 0xf1ff
	v_add_co_ci_u32_e64 v1, s2, s5, v3, s2
	global_load_b32 v32, v[2:3], off
	global_load_b32 v33, v[0:1], off
	v_add_co_u32 v0, s2, v0, s4
	s_wait_alu 0xf1ff
	v_add_co_ci_u32_e64 v1, s2, s5, v1, s2
	s_delay_alu instid0(VALU_DEP_2) | instskip(SKIP_1) | instid1(VALU_DEP_2)
	v_add_co_u32 v2, s2, v0, s4
	s_wait_alu 0xf1ff
	v_add_co_ci_u32_e64 v3, s2, s5, v1, s2
	global_load_b32 v34, v[0:1], off
	v_add_co_u32 v0, s2, v2, s4
	s_wait_alu 0xf1ff
	v_add_co_ci_u32_e64 v1, s2, s5, v3, s2
	global_load_b32 v35, v[2:3], off
	v_add_co_u32 v2, s2, v0, s4
	s_wait_alu 0xf1ff
	v_add_co_ci_u32_e64 v3, s2, s5, v1, s2
	global_load_b32 v36, v[0:1], off
	;; [unrolled: 4-line block ×3, first 2 shown]
	global_load_b32 v0, v[0:1], off
	v_add_nc_u32_e32 v1, 0x200, v55
	v_add_nc_u32_e32 v3, 0x400, v55
	s_wait_loadcnt 0x21
	v_lshrrev_b32_e32 v40, 16, v4
	s_wait_loadcnt 0x20
	v_lshrrev_b32_e32 v41, 16, v6
	s_wait_loadcnt 0x1f
	v_lshrrev_b32_e32 v42, 16, v7
	s_wait_loadcnt 0x1e
	v_lshrrev_b32_e32 v43, 16, v8
	s_wait_loadcnt 0x1d
	v_lshrrev_b32_e32 v44, 16, v9
	s_wait_loadcnt 0x1c
	v_lshrrev_b32_e32 v45, 16, v10
	s_wait_loadcnt 0x1b
	v_lshrrev_b32_e32 v46, 16, v11
	s_wait_loadcnt 0x1a
	v_lshrrev_b32_e32 v47, 16, v12
	s_wait_loadcnt 0x19
	v_lshrrev_b32_e32 v48, 16, v5
	s_wait_loadcnt 0x18
	v_lshrrev_b32_e32 v49, 16, v13
	s_wait_loadcnt 0x17
	v_lshrrev_b32_e32 v50, 16, v14
	s_wait_loadcnt 0x16
	v_lshrrev_b32_e32 v51, 16, v15
	s_wait_loadcnt 0x15
	v_lshrrev_b32_e32 v52, 16, v16
	s_wait_loadcnt 0x14
	v_lshrrev_b32_e32 v54, 16, v17
	s_wait_loadcnt 0x13
	v_lshrrev_b32_e32 v57, 16, v18
	s_wait_loadcnt 0x12
	v_lshrrev_b32_e32 v58, 16, v19
	s_wait_loadcnt 0x11
	v_lshrrev_b32_e32 v61, 16, v20
	s_wait_loadcnt 0x10
	v_lshrrev_b32_e32 v53, 16, v21
	v_mul_f16_e32 v59, v40, v21
	s_wait_loadcnt 0xf
	v_lshrrev_b32_e32 v60, 16, v22
	v_mul_f16_e32 v62, v41, v22
	v_mul_f16_e32 v40, v40, v53
	v_fma_f16 v53, v4, v53, -v59
	s_delay_alu instid0(VALU_DEP_2)
	v_fmac_f16_e32 v40, v4, v21
	v_mul_f16_e32 v4, v41, v60
	v_fma_f16 v41, v6, v60, -v62
	s_wait_loadcnt 0xe
	v_lshrrev_b32_e32 v21, 16, v23
	v_mul_f16_e32 v59, v42, v23
	v_fmac_f16_e32 v4, v6, v22
	s_wait_loadcnt 0xd
	v_lshrrev_b32_e32 v22, 16, v25
	v_pack_b32_f16 v40, v40, v53
	v_mul_f16_e32 v6, v42, v21
	v_mul_f16_e32 v42, v43, v25
	v_fma_f16 v21, v7, v21, -v59
	v_pack_b32_f16 v4, v4, v41
	s_delay_alu instid0(VALU_DEP_4)
	v_fmac_f16_e32 v6, v7, v23
	v_mul_f16_e32 v7, v43, v22
	s_wait_loadcnt 0xc
	v_lshrrev_b32_e32 v23, 16, v26
	v_fma_f16 v22, v8, v22, -v42
	v_mul_f16_e32 v41, v44, v26
	ds_store_2addr_b32 v55, v40, v4 offset1:90
	v_pack_b32_f16 v4, v6, v21
	v_fmac_f16_e32 v7, v8, v25
	v_mul_f16_e32 v6, v44, v23
	s_wait_loadcnt 0xb
	v_lshrrev_b32_e32 v8, 16, v27
	v_mul_f16_e32 v21, v45, v27
	v_fma_f16 v23, v9, v23, -v41
	v_pack_b32_f16 v7, v7, v22
	v_fmac_f16_e32 v6, v9, v26
	v_mul_f16_e32 v9, v45, v8
	v_fma_f16 v8, v10, v8, -v21
	s_wait_loadcnt 0xa
	v_lshrrev_b32_e32 v21, 16, v28
	v_mul_f16_e32 v22, v46, v28
	ds_store_2addr_b32 v1, v4, v7 offset0:52 offset1:142
	v_pack_b32_f16 v1, v6, v23
	v_fmac_f16_e32 v9, v10, v27
	v_mul_f16_e32 v4, v46, v21
	s_wait_loadcnt 0x9
	v_lshrrev_b32_e32 v6, 16, v29
	v_mul_f16_e32 v7, v47, v29
	v_fma_f16 v10, v11, v21, -v22
	v_pack_b32_f16 v8, v9, v8
	v_fmac_f16_e32 v4, v11, v28
	v_mul_f16_e32 v9, v47, v6
	v_fma_f16 v6, v12, v6, -v7
	s_wait_loadcnt 0x8
	v_lshrrev_b32_e32 v7, 16, v30
	v_mul_f16_e32 v11, v48, v30
	ds_store_2addr_b32 v3, v1, v8 offset0:104 offset1:194
	;; [unrolled: 15-line block ×3, first 2 shown]
	v_fmac_f16_e32 v5, v13, v31
	s_wait_loadcnt 0x5
	v_lshrrev_b32_e32 v6, 16, v33
	v_pack_b32_f16 v1, v3, v7
	v_mul_f16_e32 v3, v50, v8
	v_fma_f16 v7, v14, v8, -v9
	v_mul_f16_e32 v8, v51, v33
	v_pack_b32_f16 v4, v5, v4
	v_mul_f16_e32 v5, v51, v6
	v_fmac_f16_e32 v3, v14, v32
	s_wait_loadcnt 0x4
	v_lshrrev_b32_e32 v9, 16, v34
	v_fma_f16 v6, v15, v6, -v8
	v_mul_f16_e32 v8, v52, v34
	v_fmac_f16_e32 v5, v15, v33
	s_wait_loadcnt 0x3
	v_lshrrev_b32_e32 v10, 16, v35
	v_pack_b32_f16 v3, v3, v7
	v_mul_f16_e32 v7, v52, v9
	v_fma_f16 v8, v16, v9, -v8
	v_mul_f16_e32 v9, v54, v35
	v_pack_b32_f16 v5, v5, v6
	v_mul_f16_e32 v6, v54, v10
	v_fmac_f16_e32 v7, v16, v34
	s_wait_loadcnt 0x2
	v_lshrrev_b32_e32 v11, 16, v36
	v_fma_f16 v9, v17, v10, -v9
	v_mul_f16_e32 v10, v57, v36
	v_fmac_f16_e32 v6, v17, v35
	s_wait_loadcnt 0x1
	v_lshrrev_b32_e32 v12, 16, v2
	s_wait_loadcnt 0x0
	v_lshrrev_b32_e32 v13, 16, v0
	v_pack_b32_f16 v7, v7, v8
	v_mul_f16_e32 v8, v57, v11
	v_fma_f16 v10, v18, v11, -v10
	v_mul_f16_e32 v11, v58, v2
	v_pack_b32_f16 v6, v6, v9
	v_mul_f16_e32 v9, v58, v12
	v_mul_f16_e32 v14, v61, v13
	;; [unrolled: 1-line block ×3, first 2 shown]
	v_fmac_f16_e32 v8, v18, v36
	v_fma_f16 v11, v19, v12, -v11
	v_fmac_f16_e32 v9, v19, v2
	v_fmac_f16_e32 v14, v20, v0
	v_fma_f16 v0, v20, v13, -v15
	v_add_nc_u32_e32 v2, 0x1000, v55
	v_pack_b32_f16 v8, v8, v10
	v_pack_b32_f16 v9, v9, v11
	v_add_nc_u32_e32 v10, 0x1200, v55
	v_pack_b32_f16 v0, v14, v0
	ds_store_2addr_b32 v38, v1, v4 offset0:80 offset1:170
	ds_store_2addr_b32 v39, v3, v5 offset0:132 offset1:222
	;; [unrolled: 1-line block ×4, first 2 shown]
	ds_store_b32 v55, v0 offset:5760
.LBB0_3:
	s_or_b32 exec_lo, exec_lo, s3
	s_clause 0x1
	s_load_b64 s[4:5], s[0:1], 0x20
	s_load_b64 s[2:3], s[0:1], 0x8
	v_mov_b32_e32 v8, 0
                                        ; kill: def $vgpr0 killed $sgpr0 killed $exec
	global_wb scope:SCOPE_SE
	s_wait_dscnt 0x0
	s_wait_kmcnt 0x0
	s_barrier_signal -1
	s_barrier_wait -1
	global_inv scope:SCOPE_SE
                                        ; implicit-def: $vgpr17
                                        ; implicit-def: $vgpr1
                                        ; implicit-def: $vgpr3
                                        ; implicit-def: $vgpr5
                                        ; implicit-def: $vgpr7
                                        ; implicit-def: $vgpr11
                                        ; implicit-def: $vgpr14
                                        ; implicit-def: $vgpr16
                                        ; implicit-def: $vgpr90
	s_and_saveexec_b32 s0, vcc_lo
	s_cbranch_execz .LBB0_5
; %bb.4:
	v_add_nc_u32_e32 v0, 0x200, v55
	v_add_nc_u32_e32 v1, 0x400, v55
	;; [unrolled: 1-line block ×3, first 2 shown]
	ds_load_2addr_b32 v[8:9], v55 offset1:90
	v_add_nc_u32_e32 v3, 0x1000, v55
	ds_load_2addr_b32 v[15:16], v0 offset0:52 offset1:142
	ds_load_2addr_b32 v[13:14], v1 offset0:104 offset1:194
	v_add_nc_u32_e32 v0, 0xa00, v55
	v_add_nc_u32_e32 v1, 0xc00, v55
	;; [unrolled: 1-line block ×3, first 2 shown]
	ds_load_2addr_b32 v[10:11], v2 offset0:28 offset1:118
	ds_load_2addr_b32 v[6:7], v0 offset0:80 offset1:170
	;; [unrolled: 1-line block ×5, first 2 shown]
	ds_load_b32 v17, v55 offset:5760
	s_wait_dscnt 0x7
	v_alignbit_b32 v90, v15, v15, 16
.LBB0_5:
	s_wait_alu 0xfffe
	s_or_b32 exec_lo, exec_lo, s0
	s_wait_dscnt 0x0
	v_pk_add_f16 v15, v9, v17 neg_lo:[0,1] neg_hi:[0,1]
	v_pk_add_f16 v22, v90, v1 op_sel:[1,0] op_sel_hi:[0,1] neg_lo:[0,1] neg_hi:[0,1]
	v_pk_add_f16 v21, v17, v9
	v_pk_add_f16 v18, v1, v90 op_sel:[1,0] op_sel_hi:[0,1]
	v_pk_add_f16 v19, v16, v0 neg_lo:[0,1] neg_hi:[0,1]
	v_lshrrev_b32_e32 v69, 16, v15
	v_lshrrev_b32_e32 v72, 16, v22
	;; [unrolled: 1-line block ×3, first 2 shown]
	v_mul_f16_e32 v71, 0xb964, v15
	v_lshrrev_b32_e32 v34, 16, v18
	v_mul_f16_e32 v54, 0xb5c8, v69
	v_mul_f16_e32 v58, 0xb964, v72
	v_lshrrev_b32_e32 v73, 16, v19
	v_lshrrev_b32_e32 v32, 16, v8
	v_pk_add_f16 v20, v0, v16
	v_fmamk_f16 v23, v21, 0x3b76, v54
	v_pk_mul_f16 v12, 0x3b7639e9, v21
	v_mul_f16_e32 v74, 0xbbf7, v22
	v_fma_f16 v26, v36, 0x39e9, -v71
	v_fmamk_f16 v27, v34, 0x39e9, v58
	v_add_f16_e32 v23, v23, v8
	v_mul_f16_e32 v59, 0xbb29, v73
	v_pk_fma_f16 v43, 0xb964b5c8, v15, v12 op_sel:[0,0,1] op_sel_hi:[1,1,0] neg_lo:[0,1,0] neg_hi:[0,1,0]
	v_pk_fma_f16 v44, 0xb964b5c8, v15, v12 op_sel:[0,0,1] op_sel_hi:[1,1,0]
	v_add_f16_e32 v12, v26, v32
	v_add_f16_e32 v26, v27, v23
	v_pk_add_f16 v23, v13, v3 neg_lo:[0,1] neg_hi:[0,1]
	v_fma_f16 v27, v18, 0x2de8, -v74
	v_fmamk_f16 v28, v20, 0x3722, v59
	v_pk_mul_f16 v25, 0xbbf7b964, v22
	v_lshrrev_b32_e32 v38, 16, v20
	v_lshrrev_b32_e32 v76, 16, v23
	v_mul_f16_e32 v77, 0xba62, v19
	v_add_f16_e32 v12, v27, v12
	v_add_f16_e32 v27, v28, v26
	v_pk_add_f16 v26, v14, v2 neg_lo:[0,1] neg_hi:[0,1]
	v_pk_fma_f16 v48, 0x2de839e9, v18, v25 neg_lo:[0,0,1] neg_hi:[0,0,1]
	v_pk_fma_f16 v49, 0x2de839e9, v18, v25
	v_pk_add_f16 v25, v3, v13
	v_mul_f16_e32 v60, 0xbbf7, v76
	v_fma_f16 v28, v38, 0xb8d2, -v77
	v_lshrrev_b32_e32 v78, 16, v26
	v_pk_mul_f16 v29, 0x3722b8d2, v20
	v_lshrrev_b32_e32 v37, 16, v25
	v_fmamk_f16 v30, v25, 0x2de8, v60
	v_add_f16_e32 v12, v28, v12
	v_mul_f16_e32 v83, 0xb1e1, v23
	v_pk_add_f16 v28, v2, v14
	v_mul_f16_e32 v67, 0xbbb2, v78
	v_pk_fma_f16 v50, 0xba62bb29, v19, v29 op_sel:[0,0,1] op_sel_hi:[1,1,0] neg_lo:[0,1,0] neg_hi:[0,1,0]
	v_pk_fma_f16 v51, 0xba62bb29, v19, v29 op_sel:[0,0,1] op_sel_hi:[1,1,0]
	v_add_f16_e32 v30, v30, v27
	v_pk_mul_f16 v29, 0x2de8bbdd, v25
	v_pk_add_f16 v27, v10, v5 neg_lo:[0,1] neg_hi:[0,1]
	v_fma_f16 v31, v37, 0xbbdd, -v83
	v_fmamk_f16 v33, v28, 0xb461, v67
	v_lshrrev_b32_e32 v39, 16, v28
	v_mul_f16_e32 v84, 0x3836, v26
	v_pk_fma_f16 v52, 0xb1e1bbf7, v23, v29 op_sel:[0,0,1] op_sel_hi:[1,1,0] neg_lo:[0,1,0] neg_hi:[0,1,0]
	v_pk_fma_f16 v53, 0xb1e1bbf7, v23, v29 op_sel:[0,0,1] op_sel_hi:[1,1,0]
	v_lshrrev_b32_e32 v81, 16, v27
	v_pk_add_f16 v29, v5, v10
	v_add_f16_e32 v12, v31, v12
	v_add_f16_e32 v33, v33, v30
	v_fma_f16 v35, v39, 0xbacd, -v84
	v_pk_add_f16 v30, v11, v4 neg_lo:[0,1] neg_hi:[0,1]
	v_mul_f16_e32 v63, 0xba62, v81
	v_pk_mul_f16 v31, 0xb461bacd, v28
	v_mul_f16_e32 v86, 0x3bb2, v27
	v_add_f16_e32 v12, v35, v12
	v_lshrrev_b32_e32 v85, 16, v30
	v_pk_mul_f16 v35, 0xb8d2b461, v29
	v_fmamk_f16 v40, v29, 0xb8d2, v63
	v_pk_fma_f16 v61, 0x3836bbb2, v26, v31 op_sel:[0,0,1] op_sel_hi:[1,1,0] neg_lo:[0,1,0] neg_hi:[0,1,0]
	v_pk_fma_f16 v62, 0x3836bbb2, v26, v31 op_sel:[0,0,1] op_sel_hi:[1,1,0]
	v_pk_add_f16 v31, v4, v11
	v_mul_f16_e32 v66, 0xb836, v85
	v_pk_fma_f16 v64, 0x3bb2ba62, v27, v35 op_sel:[0,0,1] op_sel_hi:[1,1,0] neg_lo:[0,1,0] neg_hi:[0,1,0]
	v_pk_fma_f16 v65, 0x3bb2ba62, v27, v35 op_sel:[0,0,1] op_sel_hi:[1,1,0]
	v_lshrrev_b32_e32 v35, 16, v44
	v_add_f16_e32 v33, v40, v33
	v_lshrrev_b32_e32 v40, 16, v29
	v_fmamk_f16 v42, v31, 0xbacd, v66
	v_add_f16_e32 v46, v43, v32
	v_add_f16_e32 v35, v35, v8
	v_lshrrev_b32_e32 v47, 16, v49
	v_fma_f16 v41, v40, 0xb461, -v86
	v_add_f16_e32 v57, v42, v33
	v_add_f16_e32 v42, v48, v46
	v_lshrrev_b32_e32 v46, 16, v51
	v_add_f16_e32 v35, v47, v35
	v_pk_mul_f16 v45, 0xbacd3722, v31
	v_add_f16_e32 v12, v41, v12
	v_lshrrev_b32_e32 v41, 16, v31
	v_mul_f16_e32 v88, 0x3b29, v30
	v_add_f16_e32 v42, v50, v42
	v_add_f16_e32 v35, v46, v35
	v_lshrrev_b32_e32 v46, 16, v53
	v_pk_fma_f16 v70, 0x3b29b836, v30, v45 op_sel:[0,0,1] op_sel_hi:[1,1,0] neg_lo:[0,1,0] neg_hi:[0,1,0]
	v_pk_add_f16 v33, v6, v7 neg_lo:[0,1] neg_hi:[0,1]
	v_pk_fma_f16 v75, 0x3b29b836, v30, v45 op_sel:[0,0,1] op_sel_hi:[1,1,0]
	v_fma_f16 v45, v41, 0x3722, -v88
	v_add_f16_e32 v42, v52, v42
	v_add_f16_e32 v46, v46, v35
	v_lshrrev_b32_e32 v47, 16, v62
	v_pk_add_f16 v35, v7, v6
	v_lshrrev_b32_e32 v87, 16, v33
	v_add_f16_e32 v68, v45, v12
	v_add_f16_e32 v12, v61, v42
	;; [unrolled: 1-line block ×3, first 2 shown]
	v_lshrrev_b32_e32 v46, 16, v65
	v_pk_mul_f16 v80, 0xbbdd3b76, v35
	v_mul_f16_e32 v82, 0xb1e1, v87
	v_add_f16_e32 v12, v64, v12
	v_lshrrev_b32_e32 v42, 16, v35
	v_add_f16_e32 v45, v46, v45
	v_lshrrev_b32_e32 v46, 16, v75
	v_pk_fma_f16 v79, 0x35c8b1e1, v33, v80 op_sel:[0,0,1] op_sel_hi:[1,1,0]
	v_mul_f16_e32 v89, 0x35c8, v33
	v_fmamk_f16 v47, v35, 0xbbdd, v82
	v_pk_fma_f16 v80, 0x35c8b1e1, v33, v80 op_sel:[0,0,1] op_sel_hi:[1,1,0] neg_lo:[0,1,0] neg_hi:[0,1,0]
	v_add_f16_e32 v91, v70, v12
	v_add_f16_e32 v46, v46, v45
	v_lshrrev_b32_e32 v92, 16, v79
	v_fma_f16 v93, v42, 0x3b76, -v89
	v_add_f16_e32 v12, v47, v57
	v_add_f16_e32 v45, v80, v91
	v_mul_lo_u16 v57, v56, 17
	v_add_f16_e32 v47, v92, v46
	v_add_f16_e32 v46, v93, v68
	global_wb scope:SCOPE_SE
	s_barrier_signal -1
	s_barrier_wait -1
	global_inv scope:SCOPE_SE
	s_and_saveexec_b32 s0, vcc_lo
	s_cbranch_execz .LBB0_7
; %bb.6:
	v_mul_f16_e32 v98, 0xb836, v15
	v_alignbit_b32 v68, v8, v8, 16
	v_mul_f16_e32 v99, 0x3b29, v22
	v_alignbit_b32 v90, v90, v90, 16
	v_mul_f16_e32 v100, 0xbbf7, v19
	v_fmamk_f16 v91, v36, 0xbacd, v98
	v_pk_add_f16 v9, v9, v68 op_sel:[0,1] op_sel_hi:[1,0]
	v_fmamk_f16 v92, v18, 0x3722, v99
	v_mul_f16_e32 v97, 0xb836, v69
	v_mul_f16_e32 v101, 0x3a62, v23
	v_add_f16_e32 v91, v91, v32
	v_fmamk_f16 v93, v38, 0x2de8, v100
	v_pk_add_f16 v9, v90, v9
	v_mul_f16_e32 v94, 0x3b29, v72
	v_mul_f16_e32 v102, 0xb5c8, v26
	v_add_f16_e32 v90, v92, v91
	v_fma_f16 v91, v21, 0xbacd, -v97
	v_fmamk_f16 v92, v37, 0xb8d2, v101
	v_pk_add_f16 v9, v16, v9
	v_mul_f16_e32 v95, 0xbbf7, v73
	v_add_f16_e32 v16, v93, v90
	v_fma_f16 v90, v34, 0x3722, -v94
	v_fmamk_f16 v93, v39, 0x3b76, v102
	v_add_f16_e32 v91, v91, v8
	v_pk_add_f16 v9, v13, v9
	v_add_f16_e32 v13, v92, v16
	v_mul_f16_e32 v103, 0xb1e1, v27
	v_fma_f16 v92, v20, 0x2de8, -v95
	v_add_f16_e32 v90, v90, v91
	v_pk_add_f16 v16, v14, v9
	v_add_f16_e32 v9, v93, v13
	v_fmamk_f16 v13, v40, 0xbbdd, v103
	v_mul_f16_e32 v96, 0x3a62, v76
	v_mul_f16_e32 v104, 0x3964, v30
	;; [unrolled: 1-line block ×3, first 2 shown]
	v_add_f16_e32 v14, v92, v90
	v_add_f16_e32 v9, v13, v9
	v_fma_f16 v13, v25, 0xb8d2, -v96
	v_mul_f16_e32 v106, 0xb5c8, v78
	v_fmamk_f16 v90, v41, 0x39e9, v104
	v_fmamk_f16 v91, v36, 0xb8d2, v105
	v_mul_f16_e32 v107, 0x3bb2, v22
	v_add_f16_e32 v13, v13, v14
	v_fma_f16 v14, v28, 0x3b76, -v106
	v_add_f16_e32 v9, v90, v9
	v_add_f16_e32 v90, v91, v32
	v_fmamk_f16 v91, v18, 0xb461, v107
	v_mul_f16_e32 v108, 0xb5c8, v19
	v_add_f16_e32 v13, v14, v13
	v_mul_f16_e32 v110, 0xb1e1, v81
	v_mul_f16_e32 v111, 0xb836, v23
	v_add_f16_e32 v14, v91, v90
	v_fmamk_f16 v90, v38, 0x3b76, v108
	v_mul_f16_e32 v109, 0xbbb2, v33
	v_fma_f16 v92, v29, 0xbbdd, -v110
	v_mul_f16_e32 v112, 0x3964, v85
	v_mul_f16_e32 v113, 0x3bf7, v26
	v_add_f16_e32 v14, v90, v14
	v_fmamk_f16 v90, v37, 0xbacd, v111
	v_fmamk_f16 v91, v42, 0xb461, v109
	v_add_f16_e32 v13, v92, v13
	v_fma_f16 v92, v31, 0x39e9, -v112
	v_mul_f16_e32 v114, 0xb964, v27
	v_add_f16_e32 v14, v90, v14
	v_fmamk_f16 v90, v39, 0x2de8, v113
	v_mul_f16_e32 v115, 0xbbb2, v87
	v_mul_f16_e32 v116, 0xba62, v69
	v_add_f16_e32 v9, v91, v9
	v_add_f16_e32 v13, v92, v13
	;; [unrolled: 1-line block ×3, first 2 shown]
	v_fmamk_f16 v90, v40, 0x39e9, v114
	v_mul_f16_e32 v117, 0xb1e1, v30
	v_fma_f16 v91, v35, 0xb461, -v115
	v_fma_f16 v92, v21, 0xb8d2, -v116
	v_mul_f16_e32 v118, 0x3bb2, v72
	v_add_f16_e32 v14, v90, v14
	v_fmamk_f16 v90, v41, 0xbbdd, v117
	v_add_f16_e32 v13, v91, v13
	v_add_f16_e32 v91, v92, v8
	v_fma_f16 v92, v34, 0xb461, -v118
	v_mul_f16_e32 v119, 0xb5c8, v73
	v_mul_f16_e32 v121, 0xbbb2, v15
	v_add_f16_e32 v14, v90, v14
	v_mul_f16_e32 v122, 0xb836, v76
	v_add_f16_e32 v90, v92, v91
	v_fma_f16 v91, v20, 0x3b76, -v119
	v_fmamk_f16 v93, v36, 0xb461, v121
	v_mul_f16_e32 v123, 0x3836, v22
	v_mul_f16_e32 v124, 0x3bf7, v78
	v_mul_f16_e32 v126, 0x3964, v19
	v_add_f16_e32 v90, v91, v90
	v_fma_f16 v91, v25, 0xbacd, -v122
	v_add_f16_e32 v93, v93, v32
	v_fmamk_f16 v125, v18, 0xbacd, v123
	v_mul_f16_e32 v120, 0x3b29, v33
	v_mul_f16_e32 v127, 0xb964, v81
	v_add_f16_e32 v90, v91, v90
	v_fma_f16 v91, v28, 0x2de8, -v124
	v_add_f16_e32 v93, v125, v93
	v_fmamk_f16 v125, v38, 0x39e9, v126
	v_mul_f16_e64 v128, 0xbb29, v23
	v_fmamk_f16 v92, v42, 0x3722, v120
	v_add_f16_e32 v90, v91, v90
	v_fma_f16 v91, v29, 0x39e9, -v127
	v_mul_f16_e64 v129, 0xb1e1, v85
	v_add_f16_e32 v93, v125, v93
	v_fma_f16 v125, 0x3722, v37, v128
	v_mul_f16_e64 v130, 0xb1e1, v26
	v_add_f16_e32 v90, v91, v90
	v_fma_f16 v91, v31, 0xbbdd, -v129
	v_add_f16_e32 v14, v92, v14
	v_add_f16_e32 v92, v125, v93
	v_fma_f16 v93, 0xbbdd, v39, v130
	v_mul_f16_e32 v125, 0x3bf7, v27
	v_mul_f16_e64 v131, 0x3b29, v87
	v_mul_f16_e64 v132, 0xbbb2, v69
	v_add_f16_e32 v90, v91, v90
	v_add_f16_e32 v91, v93, v92
	v_fmamk_f16 v92, v40, 0x2de8, v125
	v_mul_f16_e64 v133, 0xb5c8, v30
	v_fma_f16 v93, v35, 0x3722, -v131
	v_fma_f16 v134, v21, 0xb461, -v132
	v_mul_f16_e64 v135, 0x3836, v72
	v_add_f16_e32 v91, v92, v91
	v_fma_f16 v92, 0x3b76, v41, v133
	v_add_f16_e32 v90, v93, v90
	v_add_f16_e64 v93, v134, v8
	v_fma_f16 v134, v34, 0xbacd, -v135
	v_mul_f16_e64 v136, 0x3964, v73
	v_mul_f16_e64 v138, 0xbbf7, v15
	v_add_f16_e32 v91, v92, v91
	v_mul_f16_e64 v141, 0xb1e1, v22
	v_add_f16_e64 v92, v134, v93
	v_fma_f16 v93, v20, 0x39e9, -v136
	v_mul_f16_e64 v134, 0xbb29, v76
	v_fma_f16 v140, 0x2de8, v36, v138
	v_mul_f16_e64 v142, 0xb1e1, v78
	v_fma_f16 v143, 0xbbdd, v18, v141
	v_add_f16_e32 v92, v93, v92
	v_fma_f16 v93, v25, 0x3722, -v134
	v_add_f16_e64 v140, v140, v32
	v_mul_f16_e64 v144, 0x3bb2, v19
	v_mul_f16_e64 v137, 0xba62, v33
	v_mul_f16_e64 v145, 0x3bf7, v81
	v_add_f16_e32 v92, v93, v92
	v_fma_f16 v93, v28, 0xbbdd, -v142
	v_add_f16_e64 v140, v143, v140
	v_fma_f16 v143, 0xb461, v38, v144
	v_mul_f16_e64 v146, 0x35c8, v23
	v_fma_f16 v139, 0xb8d2, v42, v137
	v_add_f16_e32 v92, v93, v92
	v_fma_f16 v93, v29, 0x2de8, -v145
	v_mul_f16_e64 v147, 0xb5c8, v85
	v_add_f16_e64 v140, v143, v140
	v_fma_f16 v143, 0x3b76, v37, v146
	v_mul_f16_e64 v148, 0xbb29, v26
	v_add_f16_e32 v92, v93, v92
	v_fma_f16 v93, v31, 0x3b76, -v147
	v_add_f16_e64 v91, v139, v91
	v_add_f16_e64 v139, v143, v140
	v_fma_f16 v140, 0x3722, v39, v148
	v_mul_f16_e64 v143, 0xb836, v27
	v_mul_f16_e64 v149, 0xbbf7, v69
	v_add_f16_e32 v92, v93, v92
	v_mul_f16_e64 v150, 0xba62, v87
	v_add_f16_e64 v93, v140, v139
	v_fma_f16 v139, 0xbacd, v40, v143
	v_mul_f16_e64 v140, 0x3a62, v30
	v_fma_f16 v151, v21, 0x2de8, -v149
	v_mul_f16_e64 v152, 0xb1e1, v72
	v_fma_f16 v153, v35, 0xb8d2, -v150
	v_add_f16_e64 v93, v139, v93
	v_fma_f16 v139, 0xb8d2, v41, v140
	v_add_f16_e64 v151, v151, v8
	v_fma_f16 v154, v34, 0xbbdd, -v152
	v_mul_f16_e64 v155, 0x3bb2, v73
	v_add_f16_e64 v92, v153, v92
	v_add_f16_e64 v93, v139, v93
	v_mul_f16_e64 v139, 0xbb29, v15
	v_add_f16_e64 v151, v154, v151
	v_fma_f16 v153, v20, 0xb461, -v155
	v_mul_f16_e64 v154, 0x35c8, v76
	v_mul_f16_e64 v158, 0xba62, v22
	v_fma_f16 v157, 0x3722, v36, v139
	v_mul_f16_e64 v159, 0xbb29, v78
	v_add_f16_e64 v151, v153, v151
	v_fma_f16 v153, v25, 0x3b76, -v154
	v_fma_f16 v160, 0xb8d2, v18, v158
	v_add_f16_e64 v157, v157, v32
	v_mul_f16_e64 v161, 0x31e1, v19
	v_mul_f16_e64 v162, 0xb836, v81
	v_add_f16_e64 v151, v153, v151
	v_fma_f16 v153, v28, 0x3722, -v159
	v_add_f16_e64 v157, v160, v157
	v_fma_f16 v160, 0xbbdd, v38, v161
	v_mul_f16_e64 v163, 0x3bb2, v23
	v_mul_f16_e64 v164, 0x3a62, v85
	v_add_f16_e64 v151, v153, v151
	v_fma_f16 v153, v29, 0xbacd, -v162
	v_mul_f16_e64 v156, 0x3964, v33
	v_add_f16_e64 v157, v160, v157
	v_fma_f16 v160, 0xb461, v37, v163
	v_mul_f16_e64 v165, 0x3964, v26
	v_add_f16_e64 v151, v153, v151
	v_fma_f16 v153, v31, 0xb8d2, -v164
	v_mul_f16_e64 v166, 0x3964, v87
	v_add_f16_e64 v157, v160, v157
	v_fma_f16 v160, 0x39e9, v39, v165
	v_mul_f16_e64 v167, 0xb5c8, v27
	v_fma_f16 v168, 0x39e9, v42, v156
	v_add_f16_e64 v151, v153, v151
	v_fma_f16 v153, v35, 0x39e9, -v166
	v_add_f16_e64 v157, v160, v157
	v_fma_f16 v160, 0x3b76, v40, v167
	v_add_f16_e64 v93, v168, v93
	v_mul_f16_e64 v168, 0xbbf7, v30
	v_mul_f16_e64 v169, 0xbb29, v69
	v_add_f16_e64 v69, v153, v151
	v_mul_f16_e64 v153, 0x39e9, v36
	v_add_f16_e64 v151, v160, v157
	v_fma_f16 v157, 0x2de8, v41, v168
	v_fma_f16 v160, v21, 0x3722, -v169
	v_mul_f16_e32 v72, 0xba62, v72
	v_mul_f16_e64 v170, 0x2de8, v18
	v_add_f16_e64 v71, v71, v153
	v_add_f16_e64 v151, v157, v151
	;; [unrolled: 1-line block ×3, first 2 shown]
	v_fma_f16 v157, v34, 0xb8d2, -v72
	v_add_f16_e64 v74, v74, v170
	v_add_f16_e32 v71, v71, v32
	v_mul_f16_e64 v160, 0xb8d2, v38
	v_mul_f16_e64 v170, 0xb836, v33
	v_add_f16_e64 v153, v157, v153
	v_mul_f16_e64 v157, 0xbbdd, v37
	v_add_f16_e32 v71, v74, v71
	v_add_f16_e64 v77, v77, v160
	v_fma_f16 v160, 0xbacd, v42, v170
	v_bfi_b32 v43, 0xffff, v44, v43
	v_add_f16_e64 v83, v83, v157
	v_bfi_b32 v44, 0xffff, v49, v48
	v_add_f16_e32 v77, v77, v71
	v_add_f16_e64 v71, v160, v151
	v_mul_f16_e64 v151, 0xbacd, v39
	v_bfi_b32 v48, 0xffff, v51, v50
	v_mul_f16_e32 v49, 0xbbdd, v35
	v_add_f16_e32 v77, v83, v77
	v_mul_f16_e32 v83, 0x3b76, v21
	v_add_f16_e64 v84, v84, v151
	v_mul_f16_e64 v151, 0x39e9, v34
	v_fma_f16 v51, v37, 0xb8d2, -v101
	v_bfi_b32 v52, 0xffff, v53, v52
	v_sub_f16_e32 v54, v83, v54
	v_add_f16_e32 v77, v84, v77
	v_sub_f16_e64 v58, v151, v58
	v_mul_f16_e32 v84, 0x3722, v20
	v_mul_f16_e32 v83, 0xb461, v40
	v_add_f16_e32 v54, v54, v8
	v_sub_f16_e32 v49, v49, v82
	v_fmac_f16_e32 v97, 0xbacd, v21
	v_sub_f16_e32 v59, v84, v59
	v_mul_f16_e32 v84, 0x2de8, v25
	v_add_f16_e32 v54, v58, v54
	v_add_f16_e32 v83, v86, v83
	v_mul_f16_e32 v58, 0xbbf7, v85
	v_mul_f16_e32 v85, 0x3722, v41
	v_fmac_f16_e32 v94, 0x3722, v34
	v_add_f16_e32 v54, v59, v54
	v_sub_f16_e32 v59, v84, v60
	v_mul_f16_e32 v60, 0xb461, v28
	v_add_f16_e32 v77, v83, v77
	v_add_f16_e32 v85, v88, v85
	v_fma_f16 v84, v36, 0xbacd, -v98
	v_add_f16_e32 v54, v59, v54
	v_sub_f16_e32 v59, v60, v67
	v_mul_f16_e32 v67, 0xb8d2, v29
	v_add_f16_e32 v77, v85, v77
	v_add_f16_e32 v84, v84, v32
	v_fma_f16 v85, v18, 0x3722, -v99
	v_add_f16_e32 v54, v59, v54
	v_sub_f16_e32 v63, v67, v63
	v_mul_f16_e32 v67, 0xbacd, v31
	v_fmac_f16_e32 v95, 0x2de8, v20
	v_fmac_f16_e32 v96, 0xb8d2, v25
	;; [unrolled: 1-line block ×3, first 2 shown]
	v_add_f16_e32 v54, v63, v54
	v_sub_f16_e32 v63, v67, v66
	v_add_f16_e32 v66, v85, v84
	v_fma_f16 v67, v38, 0x2de8, -v100
	v_fmac_f16_e32 v118, 0xb461, v34
	v_fmac_f16_e32 v119, 0x3b76, v20
	v_add_f16_e32 v53, v63, v54
	v_bfi_b32 v54, 0xffff, v62, v61
	v_add_f16_e32 v50, v67, v66
	v_bfi_b32 v61, 0xffff, v65, v64
	v_add_f16_e32 v64, v97, v8
	v_add_f16_e32 v49, v49, v53
	v_fma_f16 v53, v36, 0xb8d2, -v105
	v_add_f16_e32 v50, v51, v50
	v_fma_f16 v51, v39, 0x3b76, -v102
	;; [unrolled: 2-line block ×3, first 2 shown]
	v_add_f16_e32 v53, v53, v32
	v_mul_f16_e32 v73, 0x31e1, v73
	v_add_f16_e32 v50, v51, v50
	v_fma_f16 v51, v40, 0xbbdd, -v103
	v_add_f16_e32 v64, v95, v64
	v_add_f16_e32 v53, v65, v53
	v_fma_f16 v65, v38, 0x3b76, -v108
	v_fmac_f16_e32 v122, 0xbacd, v25
	v_add_f16_e32 v50, v51, v50
	v_fma_f16 v51, v41, 0x39e9, -v104
	v_fma_f16 v74, v20, 0xbbdd, -v73
	v_add_f16_e32 v53, v65, v53
	v_add_f16_e32 v65, v116, v8
	v_mul_f16_e32 v76, 0x3bb2, v76
	v_add_f16_e32 v50, v51, v50
	v_fma_f16 v51, v42, 0xb461, -v109
	v_fmac_f16_e32 v124, 0x2de8, v28
	v_add_f16_e32 v65, v118, v65
	v_fma_f16 v66, v36, 0xb461, -v121
	v_add_f16_e64 v74, v74, v153
	v_add_f16_e32 v50, v51, v50
	v_add_f16_e32 v51, v96, v64
	v_fma_f16 v64, v37, 0xbacd, -v111
	v_add_f16_e32 v65, v119, v65
	v_fma_f16 v153, v25, 0xb461, -v76
	v_mul_f16_e32 v78, 0x3964, v78
	v_fmac_f16_e32 v127, 0x39e9, v29
	v_add_f16_e32 v53, v64, v53
	v_fma_f16 v64, v39, 0x2de8, -v113
	v_add_f16_e32 v65, v122, v65
	v_add_f16_e32 v66, v66, v32
	v_fma_f16 v67, v18, 0xbacd, -v123
	v_add_f16_e64 v74, v153, v74
	v_add_f16_e32 v53, v64, v53
	v_fma_f16 v64, v40, 0x39e9, -v114
	v_add_f16_e32 v65, v124, v65
	v_fma_f16 v153, v28, 0x39e9, -v78
	v_mul_f16_e32 v81, 0xb5c8, v81
	v_bfi_b32 v62, 0xffff, v75, v70
	v_add_f16_e32 v53, v64, v53
	v_fma_f16 v64, v41, 0xbbdd, -v117
	v_add_f16_e64 v74, v153, v74
	v_fma_f16 v153, v29, 0x3b76, -v81
	v_fma_f16 v70, v36, 0x2de8, -v138
	;; [unrolled: 1-line block ×3, first 2 shown]
	v_add_f16_e32 v53, v64, v53
	v_fma_f16 v64, v42, 0x3722, -v120
	v_add_f16_e64 v74, v153, v74
	v_add_f16_e32 v70, v70, v32
	v_fma_f16 v75, v18, 0xbbdd, -v141
	v_mul_f16_e32 v60, 0xb836, v87
	v_add_f16_e32 v53, v64, v53
	v_add_f16_e32 v64, v127, v65
	v_add_f16_e32 v65, v67, v66
	v_fma_f16 v66, v38, 0x39e9, -v126
	v_add_f16_e32 v74, v83, v74
	v_mul_f16_e32 v83, 0x3b76, v42
	v_add_f16_e32 v70, v75, v70
	v_fma_f16 v75, v38, 0xb461, -v144
	v_add_f16_e32 v65, v66, v65
	v_fma_f16 v66, v37, 0x3722, -v128
	;; [unrolled: 2-line block ×5, first 2 shown]
	v_fmac_f16_e64 v149, 0x2de8, v21
	v_fma_f16 v36, v36, 0x3722, -v139
	v_pk_add_f16 v10, v10, v16
	v_add_f16_e32 v59, v59, v74
	v_add_f16_e32 v65, v66, v65
	v_fma_f16 v66, v40, 0x2de8, -v125
	v_add_f16_e32 v74, v83, v77
	v_add_f16_e32 v70, v75, v70
	v_fma_f16 v75, v39, 0x3722, -v148
	v_add_f16_e64 v77, v149, v8
	v_add_f16_e32 v65, v66, v65
	v_fma_f16 v66, v41, 0x3b76, -v133
	v_fmac_f16_e64 v152, 0xbbdd, v34
	v_add_f16_e32 v32, v36, v32
	v_fma_f16 v36, v18, 0xb8d2, -v158
	v_pk_add_f16 v10, v11, v10
	v_add_f16_e32 v65, v66, v65
	v_fma_f16 v66, v42, 0xb8d2, -v137
	v_fmac_f16_e64 v132, 0xb461, v21
	v_fmac_f16_e64 v155, 0xb461, v20
	;; [unrolled: 1-line block ×3, first 2 shown]
	v_add_f16_e32 v32, v36, v32
	v_add_f16_e32 v65, v66, v65
	;; [unrolled: 1-line block ×3, first 2 shown]
	v_fma_f16 v70, v40, 0xbacd, -v143
	v_add_f16_e64 v75, v152, v77
	v_fma_f16 v38, v38, 0xbbdd, -v161
	v_pk_add_f16 v6, v6, v10
	v_add_f16_e64 v67, v132, v8
	v_add_f16_e32 v66, v70, v66
	v_fma_f16 v70, v41, 0xb8d2, -v140
	v_add_f16_e64 v75, v155, v75
	v_fmac_f16_e64 v154, 0x3b76, v25
	v_add_f16_e64 v8, v169, v8
	v_fmac_f16_e32 v72, 0xb8d2, v34
	v_add_f16_e32 v32, v38, v32
	v_fma_f16 v16, v37, 0xb461, -v163
	v_pk_add_f16 v6, v7, v6
	v_add_f16_e32 v66, v70, v66
	v_add_f16_e64 v70, v154, v75
	v_fmac_f16_e64 v159, 0x3722, v28
	v_add_f16_e32 v8, v72, v8
	v_fmac_f16_e32 v73, 0xbbdd, v20
	v_add_f16_e32 v11, v16, v32
	v_fma_f16 v16, v39, 0x39e9, -v165
	v_pk_add_f16 v4, v4, v6
	v_add_f16_e64 v70, v159, v70
	v_fmac_f16_e64 v162, 0xbacd, v29
	v_add_f16_e32 v8, v73, v8
	v_fmac_f16_e32 v76, 0xb461, v25
	v_add_f16_e32 v10, v16, v11
	v_fma_f16 v11, v40, 0x3b76, -v167
	v_pk_add_f16 v4, v5, v4
	v_fmac_f16_e64 v135, 0xbacd, v34
	v_add_f16_e64 v34, v162, v70
	v_fmac_f16_e64 v164, 0xb8d2, v31
	v_add_f16_e32 v8, v76, v8
	v_fmac_f16_e32 v78, 0x39e9, v28
	v_add_f16_e32 v10, v11, v10
	v_fma_f16 v11, v41, 0x2de8, -v168
	v_pk_add_f16 v2, v2, v4
	v_add_f16_e64 v7, v164, v34
	v_add_f16_e32 v6, v78, v8
	v_fmac_f16_e64 v166, 0x39e9, v35
	v_add_f16_e32 v8, v11, v10
	v_fma_f16 v5, v42, 0xbacd, -v170
	v_pk_add_f16 v2, v3, v2
	v_and_b32_e32 v3, 0xffff, v57
	v_add_f16_e64 v4, v166, v7
	v_pk_add_f16 v7, v43, v68
	v_add_f16_e32 v5, v5, v8
	v_pk_mul_f16 v8, 0xbbdd, v21 op_sel_hi:[0,1]
	v_pk_add_f16 v0, v0, v2
	v_lshlrev_b32_e32 v2, 2, v3
	v_pk_add_f16 v3, v44, v7
	v_pk_mul_f16 v11, 0x35c8, v22 op_sel_hi:[0,1]
	v_pk_fma_f16 v7, 0xb1e1, v15, v8 op_sel:[0,0,1] op_sel_hi:[0,1,0] neg_lo:[0,1,0] neg_hi:[0,1,0]
	v_pk_add_f16 v0, v1, v0
	v_pk_fma_f16 v1, 0xb1e1, v15, v8 op_sel:[0,0,1] op_sel_hi:[0,1,0]
	v_pk_mul_f16 v15, 0xbacd, v20 op_sel_hi:[0,1]
	v_pk_fma_f16 v8, 0x3b76, v18, v11 op_sel_hi:[0,1,1] neg_lo:[0,0,1] neg_hi:[0,0,1]
	v_pk_add_f16 v7, v7, v68
	v_pk_fma_f16 v11, 0x3b76, v18, v11 op_sel_hi:[0,1,1]
	v_pk_add_f16 v1, v1, v68
	v_pk_mul_f16 v16, 0x39e9, v25 op_sel_hi:[0,1]
	v_add_f16_e64 v67, v135, v67
	v_pk_add_f16 v7, v8, v7
	v_pk_fma_f16 v8, 0xb836, v19, v15 op_sel:[0,0,1] op_sel_hi:[0,1,0] neg_lo:[0,1,0] neg_hi:[0,1,0]
	v_pk_add_f16 v1, v11, v1
	v_pk_fma_f16 v11, 0xb836, v19, v15 op_sel:[0,0,1] op_sel_hi:[0,1,0]
	v_fmac_f16_e64 v136, 0x39e9, v20
	v_pk_add_f16 v3, v48, v3
	v_pk_add_f16 v7, v8, v7
	v_pk_fma_f16 v8, 0x3964, v23, v16 op_sel:[0,0,1] op_sel_hi:[0,1,0] neg_lo:[0,1,0] neg_hi:[0,1,0]
	v_pk_mul_f16 v15, 0xb8d2, v28 op_sel_hi:[0,1]
	v_pk_add_f16 v1, v11, v1
	v_pk_fma_f16 v11, 0x3964, v23, v16 op_sel:[0,0,1] op_sel_hi:[0,1,0]
	v_add_f16_e64 v67, v136, v67
	v_fmac_f16_e64 v134, 0x3722, v25
	v_pk_add_f16 v3, v52, v3
	v_pk_add_f16 v7, v8, v7
	v_pk_fma_f16 v8, 0xba62, v26, v15 op_sel:[0,0,1] op_sel_hi:[0,1,0] neg_lo:[0,1,0] neg_hi:[0,1,0]
	v_pk_mul_f16 v16, 0x3722, v29 op_sel_hi:[0,1]
	v_pk_add_f16 v1, v11, v1
	v_pk_fma_f16 v11, 0xba62, v26, v15 op_sel:[0,0,1] op_sel_hi:[0,1,0]
	v_fmac_f16_e32 v106, 0x3b76, v28
	v_add_f16_e64 v67, v134, v67
	v_fmac_f16_e64 v142, 0xbbdd, v28
	v_pk_add_f16 v3, v54, v3
	v_pk_add_f16 v7, v8, v7
	v_pk_fma_f16 v8, 0x3b29, v27, v16 op_sel:[0,0,1] op_sel_hi:[0,1,0] neg_lo:[0,1,0] neg_hi:[0,1,0]
	v_pk_mul_f16 v15, 0xb461, v31 op_sel_hi:[0,1]
	v_pk_add_f16 v1, v11, v1
	v_pk_fma_f16 v11, 0x3b29, v27, v16 op_sel:[0,0,1] op_sel_hi:[0,1,0]
	v_add_f16_e32 v51, v106, v51
	v_fmac_f16_e32 v110, 0xbbdd, v29
	v_add_f16_e64 v67, v142, v67
	v_fmac_f16_e64 v145, 0x2de8, v29
	v_fmac_f16_e32 v81, 0x3b76, v29
	v_pk_add_f16 v3, v61, v3
	v_pk_add_f16 v7, v8, v7
	v_pk_fma_f16 v8, 0xbbb2, v30, v15 op_sel:[0,0,1] op_sel_hi:[0,1,0] neg_lo:[0,1,0] neg_hi:[0,1,0]
	v_pk_mul_f16 v16, 0x2de8, v35 op_sel_hi:[0,1]
	v_pk_add_f16 v1, v11, v1
	v_pk_fma_f16 v11, 0xbbb2, v30, v15 op_sel:[0,0,1] op_sel_hi:[0,1,0]
	v_add_f16_e32 v51, v110, v51
	v_fmac_f16_e32 v112, 0x39e9, v31
	v_fmac_f16_e64 v129, 0xbbdd, v31
	v_bfi_b32 v63, 0xffff, v79, v80
	v_add_f16_e64 v67, v145, v67
	v_fmac_f16_e64 v147, 0x3b76, v31
	v_add_f16_e32 v6, v81, v6
	v_fmac_f16_e32 v58, 0x2de8, v31
	v_pk_add_f16 v3, v62, v3
	v_pk_add_f16 v7, v8, v7
	v_pk_fma_f16 v8, 0x3bf7, v33, v16 op_sel:[0,0,1] op_sel_hi:[0,1,0] neg_lo:[0,1,0] neg_hi:[0,1,0]
	v_pk_add_f16 v1, v11, v1
	v_pk_fma_f16 v11, 0x3bf7, v33, v16 op_sel:[0,0,1] op_sel_hi:[0,1,0]
	v_add_f16_e32 v51, v112, v51
	v_fmac_f16_e32 v115, 0xb461, v35
	v_add_f16_e64 v64, v129, v64
	v_fmac_f16_e64 v131, 0x3722, v35
	v_add_f16_e64 v67, v147, v67
	v_fmac_f16_e64 v150, 0xb8d2, v35
	v_fma_f16 v36, v42, 0x39e9, -v156
	v_add_f16_e32 v6, v58, v6
	v_fmac_f16_e32 v60, 0xbacd, v35
	v_pk_add_f16 v3, v63, v3
	v_pk_add_f16 v0, v17, v0
	v_pack_b32_f16 v9, v13, v9
	v_pk_add_f16 v7, v8, v7
	v_pk_add_f16 v1, v11, v1
	v_add_f16_e32 v51, v115, v51
	v_add_f16_e64 v64, v131, v64
	v_add_f16_e64 v67, v150, v67
	v_add_f16_e32 v10, v36, v66
	v_add_f16_e32 v6, v60, v6
	v_alignbit_b32 v15, v74, v3, 16
	v_pack_b32_f16 v3, v49, v3
	v_pack_b32_f16 v16, v69, v93
	;; [unrolled: 1-line block ×5, first 2 shown]
	ds_store_2addr_b32 v2, v0, v9 offset1:7
	v_alignbit_b32 v0, v7, v1, 16
	v_alignbit_b32 v1, v1, v7, 16
	v_pack_b32_f16 v7, v64, v53
	v_pack_b32_f16 v9, v51, v50
	;; [unrolled: 1-line block ×5, first 2 shown]
	v_perm_b32 v6, v46, v47, 0x5040100
	v_perm_b32 v14, v45, v12, 0x5040100
	ds_store_2addr_b32 v2, v3, v15 offset0:1 offset1:2
	ds_store_2addr_b32 v2, v8, v16 offset0:3 offset1:4
	;; [unrolled: 1-line block ×7, first 2 shown]
	ds_store_b32 v2, v14 offset:64
.LBB0_7:
	s_wait_alu 0xfffe
	s_or_b32 exec_lo, exec_lo, s0
	v_and_b32_e32 v0, 0xff, v56
	v_add_co_u32 v16, s0, 0x66, v56
	s_wait_alu 0xf1ff
	v_add_co_ci_u32_e64 v17, null, 0, 0, s0
	s_delay_alu instid0(VALU_DEP_3) | instskip(SKIP_3) | instid1(VALU_DEP_4)
	v_mul_lo_u16 v0, 0xf1, v0
	v_add_co_u32 v14, s0, 0xcc, v56
	v_add_co_u32 v2, null, 0x132, v56
	v_and_b32_e32 v1, 0xff, v16
	v_lshrrev_b16 v13, 12, v0
	s_delay_alu instid0(VALU_DEP_4) | instskip(SKIP_1) | instid1(VALU_DEP_4)
	v_and_b32_e32 v0, 0xffff, v14
	v_add_co_u32 v3, null, 0x198, v56
	v_mul_lo_u16 v4, 0xf1, v1
	s_delay_alu instid0(VALU_DEP_4)
	v_mul_lo_u16 v5, v13, 17
	v_and_b32_e32 v6, 0xffff, v2
	v_mul_u32_u24_e32 v7, 0xf0f1, v0
	v_and_b32_e32 v8, 0xffff, v3
	v_lshrrev_b16 v20, 12, v4
	v_sub_nc_u16 v4, v56, v5
	v_mul_u32_u24_e32 v5, 0xf0f1, v6
	v_lshrrev_b32_e32 v22, 20, v7
	v_mul_u32_u24_e32 v6, 0xf0f1, v8
	v_mul_lo_u16 v7, v20, 17
	v_and_b32_e32 v23, 0xff, v4
	v_lshrrev_b32_e32 v35, 20, v5
	v_mul_lo_u16 v4, v22, 17
	v_lshrrev_b32_e32 v36, 20, v6
	v_sub_nc_u16 v5, v16, v7
	v_lshlrev_b32_e32 v6, 3, v23
	v_mul_lo_u16 v7, v35, 17
	v_sub_nc_u16 v37, v14, v4
	v_mul_lo_u16 v4, v36, 17
	v_and_b32_e32 v38, 0xff, v5
	s_load_b128 s[4:7], s[4:5], 0x0
	v_sub_nc_u16 v39, v2, v7
	v_lshlrev_b16 v2, 1, v37
	v_sub_nc_u16 v40, v3, v4
	v_lshlrev_b32_e32 v3, 3, v38
	global_wb scope:SCOPE_SE
	s_wait_dscnt 0x0
	v_lshlrev_b16 v4, 1, v39
	s_wait_kmcnt 0x0
	s_barrier_signal -1
	v_lshlrev_b16 v5, 1, v40
	s_barrier_wait -1
	global_inv scope:SCOPE_SE
	s_clause 0x1
	global_load_b64 v[33:34], v6, s[2:3]
	global_load_b64 v[31:32], v3, s[2:3]
	v_and_b32_e32 v2, 0xffff, v2
	v_and_b32_e32 v3, 0xffff, v4
	;; [unrolled: 1-line block ×5, first 2 shown]
	v_lshlrev_b32_e32 v2, 2, v2
	v_lshlrev_b32_e32 v3, 2, v3
	;; [unrolled: 1-line block ×3, first 2 shown]
	s_clause 0x2
	global_load_b64 v[29:30], v2, s[2:3]
	global_load_b64 v[27:28], v3, s[2:3]
	;; [unrolled: 1-line block ×3, first 2 shown]
	v_and_b32_e32 v2, 0xffff, v56
	v_mul_u32_u24_e32 v13, 51, v13
	v_mul_u32_u24_e32 v43, 51, v43
	v_add_co_ci_u32_e64 v15, null, 0, 0, s0
	s_delay_alu instid0(VALU_DEP_4) | instskip(NEXT) | instid1(VALU_DEP_4)
	v_lshlrev_b32_e32 v58, 2, v2
	v_add_lshl_u32 v210, v13, v23, 2
	v_mad_u16 v13, v22, 51, v37
	v_mad_u16 v22, v35, 51, v39
	;; [unrolled: 1-line block ×3, first 2 shown]
	v_add_nc_u32_e32 v4, 0x400, v58
	v_add_nc_u32_e32 v51, 0xe00, v58
	;; [unrolled: 1-line block ×3, first 2 shown]
	ds_load_2addr_b32 v[2:3], v58 offset1:102
	ds_load_b32 v41, v58 offset:5712
	ds_load_2addr_b32 v[18:19], v4 offset0:152 offset1:254
	ds_load_2addr_b32 v[4:5], v51 offset0:124 offset1:226
	;; [unrolled: 1-line block ×3, first 2 shown]
	v_add_nc_u32_e32 v42, 0x200, v58
	v_add_nc_u32_e32 v21, 0xc00, v58
	;; [unrolled: 1-line block ×3, first 2 shown]
	ds_load_2addr_b32 v[8:9], v42 offset0:76 offset1:178
	ds_load_2addr_b32 v[10:11], v52 offset0:72 offset1:174
	;; [unrolled: 1-line block ×3, first 2 shown]
	v_and_b32_e32 v13, 0xffff, v13
	v_and_b32_e32 v22, 0xffff, v22
	;; [unrolled: 1-line block ×3, first 2 shown]
	v_add_lshl_u32 v79, v43, v38, 2
	global_wb scope:SCOPE_SE
	s_wait_loadcnt_dscnt 0x0
	v_lshlrev_b32_e32 v77, 2, v13
	v_lshlrev_b32_e32 v74, 2, v22
	v_lshlrev_b32_e32 v73, 2, v23
	s_barrier_signal -1
	v_lshrrev_b32_e32 v35, 16, v19
	v_lshrrev_b32_e32 v36, 16, v4
	;; [unrolled: 1-line block ×15, first 2 shown]
	s_barrier_wait -1
	global_inv scope:SCOPE_SE
	v_add_nc_u32_e32 v53, 0x600, v58
	v_add_nc_u32_e32 v54, 0xa00, v58
	v_cmp_gt_u16_e64 s0, 51, v56
	v_lshrrev_b32_e32 v84, 16, v33
	v_lshrrev_b32_e32 v219, 16, v34
	;; [unrolled: 1-line block ×4, first 2 shown]
	s_delay_alu instid0(VALU_DEP_4) | instskip(SKIP_3) | instid1(VALU_DEP_4)
	v_mul_f16_e32 v13, v35, v84
	v_mul_f16_e32 v22, v19, v84
	v_mul_f16_e64 v23, v36, v219
	v_mul_f16_e64 v38, v4, v219
	v_fma_f16 v13, v19, v33, -v13
	s_delay_alu instid0(VALU_DEP_4) | instskip(NEXT) | instid1(VALU_DEP_4)
	v_fmac_f16_e32 v22, v35, v33
	v_fma_f16 v4, v4, v34, -v23
	s_delay_alu instid0(VALU_DEP_4)
	v_fmac_f16_e32 v38, v36, v34
	v_mul_f16_e64 v19, v37, v220
	v_mul_f16_e64 v23, v6, v220
	;; [unrolled: 1-line block ×4, first 2 shown]
	v_lshrrev_b32_e32 v218, 16, v29
	v_lshrrev_b32_e32 v216, 16, v30
	;; [unrolled: 1-line block ×6, first 2 shown]
	v_fma_f16 v6, v6, v31, -v19
	v_fmac_f16_e32 v23, v37, v31
	v_fma_f16 v5, v5, v32, -v35
	v_fmac_f16_e32 v36, v39, v32
	v_mul_f16_e64 v19, v50, v218
	v_mul_f16_e64 v35, v7, v218
	;; [unrolled: 1-line block ×5, first 2 shown]
	v_mul_f16_e32 v76, v70, v24
	v_mul_f16_e32 v85, v48, v68
	v_add_f16_e32 v88, v13, v4
	v_sub_f16_e32 v89, v22, v38
	v_add_f16_e32 v90, v44, v22
	v_add_f16_e32 v22, v22, v38
	v_mul_f16_e64 v71, v20, v214
	v_mul_f16_e64 v72, v69, v212
	;; [unrolled: 1-line block ×3, first 2 shown]
	v_mul_f16_e32 v78, v21, v24
	v_mul_f16_e32 v86, v41, v68
	v_add_f16_e32 v87, v2, v13
	v_sub_f16_e32 v13, v13, v4
	v_fma_f16 v7, v7, v29, -v19
	v_fmac_f16_e32 v35, v50, v29
	v_fma_f16 v10, v10, v30, -v37
	v_fmac_f16_e32 v39, v65, v30
	v_fma_f16 v19, v20, v27, -v43
	v_fma_f16 v20, v21, v25, -v76
	;; [unrolled: 1-line block ×3, first 2 shown]
	v_fma_f16 v2, -0.5, v88, v2
	v_add_f16_e32 v37, v90, v38
	v_fmac_f16_e32 v44, -0.5, v22
	v_add_f16_e32 v38, v6, v5
	v_sub_f16_e32 v41, v23, v36
	v_add_f16_e32 v43, v59, v23
	v_add_f16_e32 v23, v23, v36
	v_fmac_f16_e32 v71, v67, v27
	v_fma_f16 v11, v11, v28, -v72
	v_fmac_f16_e32 v75, v69, v28
	v_fmac_f16_e32 v78, v70, v25
	;; [unrolled: 1-line block ×3, first 2 shown]
	v_add_f16_e32 v4, v87, v4
	v_add_f16_e32 v22, v3, v6
	v_sub_f16_e32 v6, v6, v5
	v_fmamk_f16 v50, v89, 0x3aee, v2
	v_fmamk_f16 v65, v13, 0xbaee, v44
	v_fmac_f16_e32 v44, 0x3aee, v13
	v_fmac_f16_e32 v3, -0.5, v38
	v_add_f16_e32 v13, v43, v36
	v_fmac_f16_e32 v59, -0.5, v23
	v_add_f16_e32 v23, v7, v10
	v_sub_f16_e32 v36, v35, v39
	v_add_f16_e32 v38, v40, v35
	v_add_f16_e32 v35, v35, v39
	v_fmac_f16_e32 v2, 0xbaee, v89
	v_add_f16_e32 v48, v19, v11
	v_add_f16_e32 v70, v71, v75
	;; [unrolled: 1-line block ×3, first 2 shown]
	v_sub_f16_e32 v76, v78, v86
	v_add_f16_e32 v85, v49, v78
	v_add_f16_e32 v78, v78, v86
	;; [unrolled: 1-line block ×4, first 2 shown]
	v_sub_f16_e32 v7, v7, v10
	v_pack_b32_f16 v4, v4, v37
	v_fmamk_f16 v37, v41, 0x3aee, v3
	v_fmac_f16_e32 v3, 0xbaee, v41
	v_fmamk_f16 v41, v6, 0xbaee, v59
	v_fma_f16 v8, -0.5, v23, v8
	v_fmac_f16_e32 v40, -0.5, v35
	v_pack_b32_f16 v23, v50, v65
	v_fmac_f16_e32 v59, 0x3aee, v6
	v_pack_b32_f16 v2, v2, v44
	v_add_f16_e32 v43, v9, v19
	v_sub_f16_e32 v67, v71, v75
	v_add_f16_e32 v69, v66, v71
	v_sub_f16_e32 v19, v19, v11
	v_fmac_f16_e32 v9, -0.5, v48
	v_fmac_f16_e32 v66, -0.5, v70
	v_add_f16_e32 v71, v18, v20
	v_sub_f16_e32 v87, v20, v21
	v_fmac_f16_e32 v18, -0.5, v72
	v_fmac_f16_e32 v49, -0.5, v78
	v_add_f16_e32 v6, v22, v10
	v_add_f16_e32 v10, v38, v39
	v_pack_b32_f16 v5, v5, v13
	v_fmamk_f16 v13, v36, 0x3aee, v8
	v_fmamk_f16 v35, v7, 0xbaee, v40
	ds_store_2addr_b32 v210, v4, v23 offset1:17
	ds_store_b32 v210, v2 offset:136
	v_pack_b32_f16 v2, v37, v41
	v_fmac_f16_e32 v8, 0xbaee, v36
	v_fmac_f16_e32 v40, 0x3aee, v7
	v_pack_b32_f16 v3, v3, v59
	v_add_f16_e32 v11, v43, v11
	v_add_f16_e32 v22, v69, v75
	v_fmamk_f16 v7, v67, 0x3aee, v9
	v_fmamk_f16 v36, v19, 0xbaee, v66
	v_fmac_f16_e32 v9, 0xbaee, v67
	v_fmac_f16_e32 v66, 0x3aee, v19
	v_add_f16_e32 v20, v71, v21
	v_add_f16_e32 v48, v85, v86
	v_fmamk_f16 v21, v76, 0x3aee, v18
	v_fmamk_f16 v50, v87, 0xbaee, v49
	v_fmac_f16_e32 v18, 0xbaee, v76
	v_fmac_f16_e32 v49, 0x3aee, v87
	v_pack_b32_f16 v4, v6, v10
	ds_store_2addr_b32 v79, v5, v2 offset1:17
	ds_store_b32 v79, v3 offset:136
	v_pack_b32_f16 v2, v13, v35
	v_pack_b32_f16 v3, v8, v40
	;; [unrolled: 1-line block ×8, first 2 shown]
	ds_store_2addr_b32 v77, v4, v2 offset1:17
	ds_store_b32 v77, v3 offset:136
	ds_store_2addr_b32 v74, v6, v5 offset1:17
	ds_store_b32 v74, v7 offset:136
	;; [unrolled: 2-line block ×3, first 2 shown]
	global_wb scope:SCOPE_SE
	s_wait_dscnt 0x0
	s_barrier_signal -1
	s_barrier_wait -1
	global_inv scope:SCOPE_SE
	ds_load_2addr_b32 v[22:23], v58 offset1:102
	ds_load_2addr_b32 v[43:44], v42 offset0:127 offset1:229
	ds_load_2addr_b32 v[41:42], v53 offset0:126 offset1:228
	;; [unrolled: 1-line block ×5, first 2 shown]
                                        ; implicit-def: $vgpr51
	s_and_saveexec_b32 s1, s0
	s_cbranch_execz .LBB0_9
; %bb.8:
	v_add_nc_u32_e32 v2, 0x330, v58
	v_add_nc_u32_e32 v3, 0xb28, v58
	;; [unrolled: 1-line block ×3, first 2 shown]
	ds_load_2addr_b32 v[20:21], v2 offset1:255
	ds_load_2addr_b32 v[18:19], v3 offset1:255
	;; [unrolled: 1-line block ×3, first 2 shown]
	s_wait_dscnt 0x2
	v_lshrrev_b32_e32 v48, 16, v20
	s_wait_dscnt 0x1
	v_mov_b32_e32 v47, v19
	v_lshrrev_b32_e32 v50, 16, v21
	v_lshrrev_b32_e32 v49, 16, v18
	;; [unrolled: 1-line block ×3, first 2 shown]
	s_wait_dscnt 0x0
	v_lshrrev_b32_e32 v45, 16, v12
	v_lshrrev_b32_e32 v51, 16, v13
.LBB0_9:
	s_wait_alu 0xfffe
	s_or_b32 exec_lo, exec_lo, s1
	v_subrev_nc_u32_e32 v2, 51, v56
	v_mul_u32_u24_e32 v4, 0xa0a1, v0
	v_mul_lo_u16 v3, 0xa1, v1
	s_wait_dscnt 0x3
	v_lshrrev_b32_e32 v70, 16, v41
	s_wait_dscnt 0x2
	v_lshrrev_b32_e32 v71, 16, v39
	v_cndmask_b32_e64 v19, v2, v56, s0
	s_wait_dscnt 0x1
	v_lshrrev_b32_e32 v76, 16, v37
	v_lshrrev_b16 v54, 13, v3
	s_wait_dscnt 0x0
	v_lshrrev_b32_e32 v78, 16, v35
	v_lshrrev_b32_e32 v88, 16, v40
	v_mul_i32_i24_e32 v2, 20, v19
	v_mul_hi_i32_i24_e32 v1, 20, v19
	v_mul_lo_u16 v3, v54, 51
	v_and_b32_e32 v54, 0xffff, v54
	v_lshrrev_b32_e32 v90, 16, v36
	v_add_co_u32 v0, s1, s2, v2
	v_lshrrev_b32_e32 v2, 21, v4
	s_wait_alu 0xf1ff
	v_add_co_ci_u32_e64 v1, s1, s3, v1, s1
	v_mul_u32_u24_e32 v54, 0x132, v54
	v_lshrrev_b32_e32 v86, 16, v44
	v_mul_lo_u16 v2, v2, 51
	s_clause 0x1
	global_load_b128 v[8:11], v[0:1], off offset:136
	global_load_b32 v67, v[0:1], off offset:152
	v_sub_nc_u16 v0, v16, v3
	v_lshrrev_b32_e32 v87, 16, v42
	v_sub_nc_u16 v65, v14, v2
	v_lshrrev_b32_e32 v89, 16, v38
	v_lshrrev_b32_e32 v85, 16, v23
	v_and_b32_e32 v69, 0xff, v0
	s_delay_alu instid0(VALU_DEP_4) | instskip(SKIP_1) | instid1(VALU_DEP_3)
	v_mul_lo_u16 v2, v65, 20
	v_and_b32_e32 v80, 0xffff, v65
	v_mad_co_u64_u32 v[0:1], null, v69, 20, s[2:3]
	s_delay_alu instid0(VALU_DEP_3) | instskip(SKIP_1) | instid1(VALU_DEP_2)
	v_and_b32_e32 v2, 0xffff, v2
	v_add_lshl_u32 v75, v54, v69, 2
	v_add_co_u32 v52, s1, s2, v2
	s_wait_alu 0xf1ff
	v_add_co_ci_u32_e64 v53, null, s3, 0, s1
	s_clause 0x3
	global_load_b128 v[4:7], v[0:1], off offset:136
	global_load_b32 v66, v[0:1], off offset:152
	global_load_b128 v[0:3], v[52:53], off offset:136
	global_load_b32 v59, v[52:53], off offset:152
	v_cmp_lt_u16_e64 s1, 50, v56
	v_lshrrev_b32_e32 v53, 16, v43
	v_lshrrev_b32_e32 v52, 16, v22
	global_wb scope:SCOPE_SE
	s_wait_loadcnt 0x0
	s_barrier_signal -1
	s_wait_alu 0xf1ff
	v_cndmask_b32_e64 v72, 0, 0x132, s1
	s_barrier_wait -1
	global_inv scope:SCOPE_SE
	v_add_lshl_u32 v72, v19, v72, 2
	v_lshrrev_b32_e32 v106, 16, v9
	v_lshrrev_b32_e32 v104, 16, v10
	;; [unrolled: 1-line block ×5, first 2 shown]
	v_mul_f16_e32 v69, v70, v106
	v_mul_f16_e32 v91, v41, v106
	;; [unrolled: 1-line block ×10, first 2 shown]
	v_fma_f16 v41, v41, v9, -v69
	v_fmac_f16_e32 v91, v70, v9
	v_fma_f16 v39, v39, v10, -v92
	v_fma_f16 v37, v37, v11, -v94
	v_fmac_f16_e32 v95, v76, v11
	v_fma_f16 v35, v35, v67, -v96
	v_lshrrev_b32_e32 v103, 16, v5
	v_lshrrev_b32_e32 v101, 16, v6
	;; [unrolled: 1-line block ×4, first 2 shown]
	v_fmac_f16_e32 v54, v53, v8
	v_fmac_f16_e32 v93, v71, v10
	;; [unrolled: 1-line block ×3, first 2 shown]
	v_fma_f16 v19, v43, v8, -v19
	v_lshrrev_b32_e32 v105, 16, v4
	v_lshrrev_b32_e32 v83, 16, v0
	v_lshrrev_b32_e32 v215, 16, v2
	v_lshrrev_b32_e32 v213, 16, v59
	v_lshrrev_b32_e32 v82, 16, v3
	v_add_f16_e32 v53, v41, v37
	v_sub_f16_e32 v92, v91, v95
	v_add_f16_e32 v94, v52, v91
	v_add_f16_e32 v91, v91, v95
	;; [unrolled: 1-line block ×3, first 2 shown]
	v_mul_f16_e32 v114, v42, v103
	v_mul_f16_e32 v115, v88, v101
	;; [unrolled: 1-line block ×6, first 2 shown]
	v_sub_f16_e32 v109, v93, v97
	v_add_f16_e32 v110, v54, v93
	v_add_f16_e32 v93, v93, v97
	v_lshrrev_b32_e32 v81, 16, v1
	v_add_f16_e32 v43, v22, v41
	v_add_f16_e32 v96, v19, v39
	v_mul_f16_e32 v111, v86, v105
	v_mul_f16_e32 v112, v44, v105
	;; [unrolled: 1-line block ×4, first 2 shown]
	v_mul_f16_e64 v125, v46, v215
	v_mul_f16_e64 v126, v47, v215
	;; [unrolled: 1-line block ×4, first 2 shown]
	v_sub_f16_e32 v41, v41, v37
	v_mul_f16_e32 v117, v89, v99
	v_mul_f16_e64 v128, v12, v82
	v_fma_f16 v22, -0.5, v53, v22
	v_fmac_f16_e32 v52, -0.5, v91
	v_fmac_f16_e32 v19, -0.5, v108
	v_fmac_f16_e32 v114, v87, v5
	v_fma_f16 v40, v40, v6, -v115
	v_fmac_f16_e32 v116, v88, v6
	v_fmac_f16_e32 v118, v89, v7
	v_fma_f16 v36, v36, v66, -v119
	v_fmac_f16_e32 v120, v90, v66
	v_sub_f16_e32 v39, v39, v35
	v_fmac_f16_e32 v54, -0.5, v93
	v_mul_f16_e32 v122, v21, v83
	v_mul_f16_e32 v124, v18, v81
	v_add_f16_e32 v37, v43, v37
	v_add_f16_e32 v43, v94, v95
	;; [unrolled: 1-line block ×4, first 2 shown]
	v_fma_f16 v44, v44, v4, -v111
	v_fmac_f16_e32 v112, v86, v4
	v_fma_f16 v42, v42, v5, -v113
	v_fma_f16 v86, v21, v0, -v121
	;; [unrolled: 1-line block ×3, first 2 shown]
	v_fmac_f16_e32 v126, v46, v2
	v_fma_f16 v13, v13, v59, -v129
	v_fmac_f16_e64 v130, v51, v59
	v_mul_f16_e32 v127, v45, v82
	v_fma_f16 v38, v38, v7, -v117
	v_fmac_f16_e64 v128, v45, v3
	v_fmamk_f16 v45, v92, 0x3aee, v22
	v_fmac_f16_e32 v22, 0xbaee, v92
	v_fmamk_f16 v46, v41, 0xbaee, v52
	v_fmac_f16_e32 v52, 0x3aee, v41
	v_fmamk_f16 v41, v109, 0x3aee, v19
	v_add_f16_e32 v87, v114, v118
	v_add_f16_e32 v89, v40, v36
	;; [unrolled: 1-line block ×3, first 2 shown]
	v_fmamk_f16 v47, v39, 0xbaee, v54
	v_fmac_f16_e32 v19, 0xbaee, v109
	v_fmac_f16_e32 v54, 0x3aee, v39
	v_mul_f16_e32 v123, v49, v81
	v_fmac_f16_e32 v122, v50, v0
	v_fmac_f16_e32 v124, v49, v1
	v_add_f16_e32 v39, v37, v35
	v_add_f16_e32 v49, v43, v53
	v_sub_f16_e32 v35, v37, v35
	v_sub_f16_e32 v37, v43, v53
	v_add_f16_e32 v43, v23, v42
	v_add_f16_e32 v53, v85, v114
	;; [unrolled: 1-line block ×5, first 2 shown]
	v_add_f16_e64 v119, v126, v130
	v_add_f16_e32 v50, v42, v38
	v_sub_f16_e32 v42, v42, v38
	v_sub_f16_e32 v90, v116, v120
	;; [unrolled: 1-line block ×3, first 2 shown]
	v_mul_f16_e32 v95, 0xbaee, v41
	v_fmac_f16_e32 v85, -0.5, v87
	v_fmac_f16_e32 v44, -0.5, v89
	;; [unrolled: 1-line block ×3, first 2 shown]
	v_mul_f16_e32 v93, 0x3aee, v47
	v_mul_f16_e32 v94, -0.5, v19
	v_mul_f16_e32 v96, -0.5, v54
	v_fma_f16 v18, v18, v1, -v123
	v_fma_f16 v12, v12, v3, -v127
	v_sub_f16_e32 v51, v114, v118
	v_add_f16_e32 v114, v86, v21
	v_sub_f16_e64 v116, v126, v130
	v_add_f16_e32 v117, v122, v126
	v_sub_f16_e32 v121, v21, v13
	v_pack_b32_f16 v123, v35, v37
	v_add_f16_e32 v21, v43, v38
	v_add_f16_e32 v35, v53, v118
	;; [unrolled: 1-line block ×4, first 2 shown]
	v_fmac_f16_e32 v86, -0.5, v115
	v_fmac_f16_e32 v122, -0.5, v119
	v_fmac_f16_e32 v95, 0.5, v47
	v_fmamk_f16 v43, v42, 0xbaee, v85
	v_fmac_f16_e32 v85, 0x3aee, v42
	v_fmamk_f16 v42, v90, 0x3aee, v44
	v_fmamk_f16 v47, v40, 0xbaee, v112
	v_fmac_f16_e32 v93, 0.5, v41
	v_fmac_f16_e32 v44, 0xbaee, v90
	v_fmac_f16_e32 v112, 0x3aee, v40
	v_fmac_f16_e32 v23, -0.5, v50
	v_fmac_f16_e32 v94, 0x3aee, v54
	v_fmac_f16_e32 v96, 0xbaee, v19
	v_add_f16_e32 v108, v18, v12
	v_add_f16_e64 v111, v124, v128
	v_pack_b32_f16 v49, v39, v49
	v_add_f16_e32 v39, v21, v36
	v_add_f16_e32 v40, v35, v37
	v_sub_f16_e32 v36, v21, v36
	v_sub_f16_e32 v35, v35, v37
	v_fmamk_f16 v88, v116, 0x3aee, v86
	v_fmac_f16_e32 v86, 0xbaee, v116
	v_fmamk_f16 v89, v121, 0xbaee, v122
	v_fmac_f16_e32 v122, 0x3aee, v121
	v_mul_f16_e32 v90, 0x3aee, v47
	v_mul_f16_e32 v92, 0xbaee, v42
	v_add_f16_e32 v50, v45, v93
	v_add_f16_e32 v53, v46, v95
	v_sub_f16_e32 v45, v45, v93
	v_mul_f16_e32 v91, -0.5, v44
	v_mul_f16_e32 v93, -0.5, v112
	v_fmamk_f16 v41, v51, 0x3aee, v23
	v_fmac_f16_e32 v23, 0xbaee, v51
	v_add_f16_e32 v51, v22, v94
	v_add_f16_e32 v54, v52, v96
	;; [unrolled: 1-line block ×3, first 2 shown]
	v_sub_f16_e64 v109, v124, v128
	v_add_f16_e32 v110, v48, v124
	v_sub_f16_e32 v113, v18, v12
	v_fmac_f16_e32 v20, -0.5, v108
	v_fmac_f16_e32 v48, -0.5, v111
	v_sub_f16_e32 v87, v22, v94
	v_sub_f16_e32 v46, v46, v95
	v_pack_b32_f16 v94, v39, v40
	v_pack_b32_f16 v95, v36, v35
	v_mul_f16_e32 v37, 0x3aee, v89
	v_mul_f16_e32 v35, -0.5, v86
	v_mul_f16_e32 v39, 0xbaee, v88
	v_mul_f16_e32 v40, -0.5, v122
	v_fmac_f16_e32 v90, 0.5, v42
	v_fmac_f16_e32 v92, 0.5, v47
	v_pack_b32_f16 v36, v50, v53
	v_fmac_f16_e32 v91, 0x3aee, v112
	v_fmac_f16_e32 v93, 0xbaee, v44
	v_pack_b32_f16 v50, v51, v54
	v_add_f16_e32 v12, v97, v12
	v_add_f16_e64 v18, v110, v128
	v_add_f16_e32 v13, v114, v13
	v_add_f16_e64 v19, v117, v130
	v_sub_f16_e32 v52, v52, v96
	v_fmamk_f16 v21, v109, 0x3aee, v20
	v_fmac_f16_e32 v20, 0xbaee, v109
	v_fmamk_f16 v22, v113, 0xbaee, v48
	v_fmac_f16_e32 v48, 0x3aee, v113
	v_fmac_f16_e32 v37, 0.5, v88
	v_fmac_f16_e32 v35, 0x3aee, v122
	v_fmac_f16_e32 v39, 0.5, v89
	v_fmac_f16_e32 v40, 0xbaee, v86
	v_add_f16_e32 v42, v41, v90
	v_add_f16_e32 v47, v43, v92
	ds_store_2addr_b32 v72, v49, v36 offset1:51
	ds_store_2addr_b32 v72, v50, v123 offset0:102 offset1:153
	v_add_f16_e32 v44, v23, v91
	v_add_f16_e32 v49, v85, v93
	v_sub_f16_e32 v41, v41, v90
	v_sub_f16_e32 v23, v23, v91
	;; [unrolled: 1-line block ×6, first 2 shown]
	v_pack_b32_f16 v45, v45, v46
	v_pack_b32_f16 v46, v87, v52
	v_sub_f16_e32 v109, v21, v37
	v_sub_f16_e32 v36, v20, v35
	;; [unrolled: 1-line block ×4, first 2 shown]
	v_pack_b32_f16 v42, v42, v47
	v_pack_b32_f16 v44, v44, v49
	;; [unrolled: 1-line block ×4, first 2 shown]
	ds_store_2addr_b32 v72, v45, v46 offset0:204 offset1:255
	ds_store_2addr_b32 v75, v94, v42 offset1:51
	ds_store_2addr_b32 v75, v44, v95 offset0:102 offset1:153
	ds_store_2addr_b32 v75, v41, v23 offset0:204 offset1:255
	s_and_saveexec_b32 s1, s0
	s_cbranch_execz .LBB0_11
; %bb.10:
	v_add_f16_e32 v22, v22, v39
	v_add_f16_e32 v18, v18, v19
	;; [unrolled: 1-line block ×4, first 2 shown]
	v_lshlrev_b32_e32 v19, 2, v80
	v_add_f16_e32 v23, v48, v40
	v_add_f16_e32 v20, v20, v35
	v_pack_b32_f16 v12, v12, v18
	v_pack_b32_f16 v13, v13, v22
	v_add_nc_u32_e32 v18, 0x1000, v19
	v_perm_b32 v21, v108, v38, 0x5040100
	v_pack_b32_f16 v20, v20, v23
	v_add_nc_u32_e32 v19, 0x1400, v19
	v_perm_b32 v22, v110, v109, 0x5040100
	v_perm_b32 v23, v97, v36, 0x5040100
	ds_store_2addr_b32 v18, v12, v13 offset0:200 offset1:251
	ds_store_2addr_b32 v19, v20, v21 offset0:46 offset1:97
	ds_store_2addr_b32 v19, v22, v23 offset0:148 offset1:199
.LBB0_11:
	s_wait_alu 0xfffe
	s_or_b32 exec_lo, exec_lo, s1
	v_lshlrev_b64_e32 v[12:13], 4, v[16:17]
	v_lshlrev_b64_e32 v[14:15], 4, v[14:15]
	v_lshlrev_b32_e32 v18, 4, v56
	global_wb scope:SCOPE_SE
	s_wait_dscnt 0x0
	s_barrier_signal -1
	s_barrier_wait -1
	v_add_co_u32 v12, s1, s2, v12
	s_wait_alu 0xf1ff
	v_add_co_ci_u32_e64 v13, s1, s3, v13, s1
	global_inv scope:SCOPE_SE
	global_load_b128 v[16:19], v18, s[2:3] offset:1156
	v_add_co_u32 v14, s1, s2, v14
	s_wait_alu 0xf1ff
	v_add_co_ci_u32_e64 v15, s1, s3, v15, s1
	s_clause 0x1
	global_load_b128 v[20:23], v[12:13], off offset:1156
	global_load_b128 v[12:15], v[14:15], off offset:1156
	v_add_nc_u32_e32 v35, 0x200, v58
	v_add_nc_u32_e32 v115, 0x800, v58
	;; [unrolled: 1-line block ×4, first 2 shown]
	ds_load_2addr_b32 v[43:44], v58 offset1:102
	v_add_nc_u32_e32 v129, 0x400, v58
	v_add_nc_u32_e32 v130, 0xe00, v58
	ds_load_b32 v37, v58 offset:5712
	ds_load_2addr_b32 v[41:42], v35 offset0:76 offset1:178
	ds_load_2addr_b32 v[39:40], v115 offset0:100 offset1:202
	;; [unrolled: 1-line block ×6, first 2 shown]
	s_wait_dscnt 0x6
	v_lshrrev_b32_e32 v53, 16, v37
	s_wait_dscnt 0x5
	v_lshrrev_b32_e32 v54, 16, v42
	;; [unrolled: 2-line block ×6, first 2 shown]
	v_lshrrev_b32_e32 v119, 16, v40
	s_wait_dscnt 0x0
	v_lshrrev_b32_e32 v120, 16, v51
	v_lshrrev_b32_e32 v121, 16, v48
	;; [unrolled: 1-line block ×8, first 2 shown]
	s_wait_loadcnt 0x2
	v_lshrrev_b32_e32 v96, 16, v16
	v_lshrrev_b32_e32 v95, 16, v17
	;; [unrolled: 1-line block ×4, first 2 shown]
	s_delay_alu instid0(VALU_DEP_4)
	v_mul_f16_e32 v125, v54, v96
	v_mul_f16_e32 v126, v42, v96
	v_mul_f16_e64 v131, v114, v95
	v_mul_f16_e64 v132, v39, v95
	;; [unrolled: 1-line block ×6, first 2 shown]
	s_wait_loadcnt 0x1
	v_lshrrev_b32_e32 v94, 16, v20
	v_lshrrev_b32_e32 v91, 16, v21
	;; [unrolled: 1-line block ×4, first 2 shown]
	s_wait_loadcnt 0x0
	v_lshrrev_b32_e32 v88, 16, v12
	v_lshrrev_b32_e32 v87, 16, v13
	;; [unrolled: 1-line block ×4, first 2 shown]
	v_fma_f16 v42, v42, v16, -v125
	v_fmac_f16_e32 v126, v54, v16
	v_fma_f16 v39, v39, v17, -v131
	v_fmac_f16_e64 v132, v114, v17
	v_fma_f16 v54, v46, v18, -v133
	v_fmac_f16_e64 v134, v116, v18
	;; [unrolled: 2-line block ×3, first 2 shown]
	v_mul_f16_e32 v46, v118, v94
	v_mul_f16_e32 v114, v49, v94
	;; [unrolled: 1-line block ×5, first 2 shown]
	v_mul_f16_e64 v131, v51, v90
	v_mul_f16_e64 v133, v121, v89
	;; [unrolled: 1-line block ×11, first 2 shown]
	v_add_f16_e64 v145, v43, v42
	v_add_f16_e64 v146, v39, v54
	;; [unrolled: 1-line block ×3, first 2 shown]
	v_sub_f16_e64 v152, v39, v42
	v_sub_f16_e64 v153, v54, v47
	v_add_f16_e64 v155, v132, v134
	v_add_f16_e64 v160, v126, v136
	v_fma_f16 v49, v49, v20, -v46
	v_fmac_f16_e32 v114, v118, v20
	v_fma_f16 v118, v40, v21, -v116
	v_fmac_f16_e32 v117, v119, v21
	v_fma_f16 v51, v51, v22, -v125
	v_fmac_f16_e64 v131, v120, v22
	v_fma_f16 v125, v48, v23, -v133
	v_fmac_f16_e64 v135, v121, v23
	v_add_f16_e64 v154, v113, v126
	v_fma_f16 v40, v50, v12, -v137
	v_fmac_f16_e64 v138, v122, v12
	v_fma_f16 v50, v45, v13, -v139
	v_fmac_f16_e64 v140, v123, v13
	;; [unrolled: 2-line block ×4, first 2 shown]
	v_sub_f16_e64 v148, v132, v134
	v_sub_f16_e64 v149, v42, v39
	;; [unrolled: 1-line block ×5, first 2 shown]
	v_add_f16_e64 v37, v145, v39
	v_fma_f16 v42, -0.5, v146, v43
	v_fma_f16 v46, -0.5, v151, v43
	v_add_f16_e64 v43, v152, v153
	v_fma_f16 v116, -0.5, v155, v113
	v_fmac_f16_e64 v113, -0.5, v160
	v_add_f16_e32 v48, v44, v49
	v_add_f16_e32 v121, v118, v51
	;; [unrolled: 1-line block ×3, first 2 shown]
	v_add_f16_e64 v145, v112, v114
	v_add_f16_e64 v146, v117, v131
	;; [unrolled: 1-line block ×3, first 2 shown]
	v_sub_f16_e64 v147, v126, v136
	v_sub_f16_e64 v158, v126, v132
	;; [unrolled: 1-line block ×3, first 2 shown]
	v_add_f16_e64 v39, v154, v132
	v_sub_f16_e32 v122, v49, v118
	v_sub_f16_e32 v123, v125, v51
	v_add_f16_e64 v154, v41, v40
	v_add_f16_e64 v155, v50, v52
	;; [unrolled: 1-line block ×6, first 2 shown]
	v_sub_f16_e64 v126, v132, v126
	v_sub_f16_e64 v161, v134, v136
	v_add_f16_e64 v53, v149, v150
	v_sub_f16_e64 v139, v117, v131
	v_sub_f16_e64 v141, v118, v49
	;; [unrolled: 1-line block ×3, first 2 shown]
	v_add_f16_e32 v54, v37, v54
	v_fma_f16 v45, 0xbb9c, v148, v46
	v_fmac_f16_e64 v46, 0x3b9c, v148
	v_fma_f16 v120, 0x3b9c, v157, v113
	v_fmac_f16_e64 v113, 0xbb9c, v157
	v_add_f16_e64 v173, v48, v118
	v_fma_f16 v48, -0.5, v121, v44
	v_fmac_f16_e32 v44, -0.5, v124
	v_add_f16_e64 v121, v145, v117
	v_fma_f16 v118, -0.5, v146, v112
	v_fmac_f16_e64 v112, -0.5, v152
	v_sub_f16_e64 v137, v114, v135
	v_sub_f16_e64 v143, v51, v125
	;; [unrolled: 1-line block ×3, first 2 shown]
	v_sub_f16_e32 v49, v114, v117
	v_sub_f16_e64 v151, v135, v131
	v_add_f16_e64 v132, v158, v159
	v_sub_f16_e32 v114, v117, v114
	v_sub_f16_e64 v153, v131, v135
	v_sub_f16_e64 v158, v138, v144
	v_sub_f16_e64 v159, v140, v142
	v_sub_f16_e64 v160, v40, v50
	v_sub_f16_e64 v163, v50, v40
	v_sub_f16_e64 v167, v40, v133
	v_sub_f16_e64 v169, v138, v140
	v_sub_f16_e64 v138, v140, v138
	v_fma_f16 v40, 0x3b9c, v147, v42
	v_fmac_f16_e64 v42, 0xbb9c, v147
	v_add_f16_e64 v134, v39, v134
	v_fma_f16 v119, 0xbb9c, v156, v116
	v_add_f16_e64 v174, v122, v123
	v_add_f16_e64 v122, v154, v50
	v_fma_f16 v37, -0.5, v155, v41
	v_add_f16_e64 v140, v165, v140
	v_fma_f16 v117, -0.5, v166, v111
	v_sub_f16_e64 v168, v50, v52
	v_fmac_f16_e64 v41, -0.5, v162
	v_fmac_f16_e64 v111, -0.5, v171
	v_add_f16_e64 v126, v126, v161
	v_fmac_f16_e64 v116, 0x3b9c, v156
	v_add_f16_e32 v39, v54, v47
	v_fmac_f16_e64 v45, 0x38b4, v147
	v_fmac_f16_e64 v46, 0xb8b4, v147
	;; [unrolled: 1-line block ×4, first 2 shown]
	v_add_f16_e64 v47, v173, v51
	v_fma_f16 v50, 0xbb9c, v139, v44
	v_add_f16_e64 v131, v121, v131
	v_fma_f16 v123, 0x3b9c, v150, v112
	v_add_f16_e64 v141, v141, v143
	v_add_f16_e64 v143, v49, v151
	v_fma_f16 v49, 0x3b9c, v137, v48
	v_fmac_f16_e64 v48, 0xbb9c, v137
	v_fma_f16 v124, 0xbb9c, v149, v118
	v_fmac_f16_e64 v118, 0x3b9c, v149
	v_sub_f16_e64 v161, v133, v52
	v_sub_f16_e64 v164, v52, v133
	v_sub_f16_e64 v170, v144, v142
	v_add_f16_e64 v145, v114, v153
	v_fmac_f16_e64 v40, 0x38b4, v148
	v_fmac_f16_e64 v42, 0xb8b4, v148
	v_add_f16_e64 v114, v134, v136
	v_fmac_f16_e64 v119, 0xb8b4, v157
	v_add_f16_e32 v52, v122, v52
	v_fma_f16 v54, 0x3b9c, v158, v37
	v_add_f16_e64 v134, v140, v142
	v_fma_f16 v122, 0xbb9c, v167, v117
	v_sub_f16_e64 v172, v142, v144
	v_fma_f16 v51, 0xbb9c, v159, v41
	v_fma_f16 v121, 0x3b9c, v168, v111
	v_fmac_f16_e64 v44, 0x3b9c, v139
	v_fmac_f16_e64 v112, 0xbb9c, v150
	;; [unrolled: 1-line block ×7, first 2 shown]
	v_fmac_f16_e32 v45, 0x34f2, v43
	v_fmac_f16_e32 v46, 0x34f2, v43
	;; [unrolled: 1-line block ×4, first 2 shown]
	v_add_f16_e32 v43, v47, v125
	v_fmac_f16_e64 v50, 0x38b4, v137
	v_add_f16_e64 v126, v131, v135
	v_fmac_f16_e64 v123, 0xb8b4, v149
	v_fmac_f16_e64 v48, 0xb8b4, v139
	;; [unrolled: 1-line block ×3, first 2 shown]
	v_add_f16_e64 v146, v160, v161
	v_add_f16_e64 v152, v169, v170
	v_fmac_f16_e32 v40, 0x34f2, v53
	v_fmac_f16_e32 v42, 0x34f2, v53
	v_fmac_f16_e64 v119, 0x34f2, v132
	v_fmac_f16_e64 v49, 0x38b4, v139
	;; [unrolled: 1-line block ×3, first 2 shown]
	v_add_f16_e64 v53, v52, v133
	v_fmac_f16_e64 v54, 0x38b4, v159
	v_add_f16_e64 v125, v134, v144
	v_fmac_f16_e64 v122, 0xb8b4, v168
	v_add_f16_e64 v151, v163, v164
	v_add_f16_e64 v138, v138, v172
	v_fmac_f16_e64 v51, 0x38b4, v158
	v_fmac_f16_e64 v121, 0xb8b4, v167
	v_fmac_f16_e64 v44, 0xb8b4, v137
	v_fmac_f16_e64 v112, 0x38b4, v149
	v_fmac_f16_e64 v41, 0xb8b4, v158
	v_fmac_f16_e64 v111, 0x38b4, v167
	v_fmac_f16_e64 v116, 0x34f2, v132
	v_pack_b32_f16 v132, v39, v114
	v_fmac_f16_e64 v37, 0xb8b4, v159
	v_fmac_f16_e64 v117, 0x38b4, v168
	;; [unrolled: 1-line block ×4, first 2 shown]
	v_pack_b32_f16 v134, v43, v126
	v_fmac_f16_e64 v48, 0x34f2, v174
	v_fmac_f16_e64 v118, 0x34f2, v143
	v_pack_b32_f16 v47, v40, v119
	v_fmac_f16_e64 v49, 0x34f2, v174
	v_fmac_f16_e64 v124, 0x34f2, v143
	;; [unrolled: 1-line block ×4, first 2 shown]
	v_pack_b32_f16 v135, v53, v125
	v_fmac_f16_e64 v51, 0x34f2, v151
	v_fmac_f16_e64 v121, 0x34f2, v138
	;; [unrolled: 1-line block ×6, first 2 shown]
	v_pack_b32_f16 v52, v45, v120
	v_fmac_f16_e64 v37, 0x34f2, v146
	v_fmac_f16_e64 v117, 0x34f2, v152
	ds_store_2addr_b32 v58, v132, v134 offset1:102
	v_pack_b32_f16 v134, v50, v123
	v_pack_b32_f16 v133, v42, v116
	;; [unrolled: 1-line block ×4, first 2 shown]
	ds_store_2addr_b32 v35, v135, v47 offset0:76 offset1:178
	v_pack_b32_f16 v35, v54, v122
	v_pack_b32_f16 v131, v46, v113
	;; [unrolled: 1-line block ×6, first 2 shown]
	ds_store_2addr_b32 v115, v52, v134 offset0:100 offset1:202
	ds_store_2addr_b32 v128, v133, v137 offset0:72 offset1:174
	ds_store_2addr_b32 v129, v132, v35 offset0:152 offset1:254
	ds_store_2addr_b32 v127, v47, v131 offset0:48 offset1:150
	ds_store_2addr_b32 v130, v136, v135 offset0:124 offset1:226
	ds_store_b32 v58, v138 offset:5712
	global_wb scope:SCOPE_SE
	s_wait_dscnt 0x0
	s_barrier_signal -1
	s_barrier_wait -1
	global_inv scope:SCOPE_SE
	s_and_saveexec_b32 s1, vcc_lo
	s_cbranch_execz .LBB0_13
; %bb.12:
	global_load_b32 v35, v55, s[12:13] offset:6120
	s_add_nc_u64 s[2:3], s[12:13], 0x17e8
	s_clause 0xf
	global_load_b32 v47, v55, s[2:3] offset:360
	global_load_b32 v52, v55, s[2:3] offset:720
	;; [unrolled: 1-line block ×16, first 2 shown]
	ds_load_b32 v127, v58
	v_add_nc_u32_e32 v156, 0x400, v55
	v_add_nc_u32_e32 v157, 0x600, v55
	;; [unrolled: 1-line block ×6, first 2 shown]
	s_wait_dscnt 0x0
	v_lshrrev_b32_e32 v128, 16, v127
	s_wait_loadcnt 0xf
	v_lshrrev_b32_e32 v162, 16, v47
	s_wait_loadcnt 0xe
	;; [unrolled: 2-line block ×12, first 2 shown]
	v_lshrrev_b32_e32 v173, 16, v151
	v_lshrrev_b32_e32 v129, 16, v35
	s_wait_loadcnt 0x3
	v_lshrrev_b32_e32 v174, 16, v152
	s_wait_loadcnt 0x2
	;; [unrolled: 2-line block ×4, first 2 shown]
	v_lshrrev_b32_e32 v177, 16, v155
	v_mul_f16_e64 v130, v128, v129
	v_mul_f16_e64 v129, v127, v129
	s_delay_alu instid0(VALU_DEP_2) | instskip(NEXT) | instid1(VALU_DEP_2)
	v_fma_f16 v127, v127, v35, -v130
	v_fmac_f16_e64 v129, v128, v35
	v_add_nc_u32_e32 v35, 0xc00, v55
	s_delay_alu instid0(VALU_DEP_2)
	v_pack_b32_f16 v127, v127, v129
	ds_store_b32 v58, v127
	ds_load_2addr_b32 v[127:128], v55 offset0:90 offset1:180
	ds_load_2addr_b32 v[129:130], v156 offset0:14 offset1:104
	ds_load_2addr_b32 v[131:132], v157 offset0:66 offset1:156
	ds_load_2addr_b32 v[133:134], v158 offset0:118 offset1:208
	ds_load_2addr_b32 v[135:136], v35 offset0:42 offset1:132
	ds_load_2addr_b32 v[137:138], v159 offset0:94 offset1:184
	ds_load_2addr_b32 v[139:140], v160 offset0:146 offset1:236
	ds_load_2addr_b32 v[141:142], v161 offset0:70 offset1:160
	s_wait_dscnt 0x7
	v_lshrrev_b32_e32 v178, 16, v127
	v_lshrrev_b32_e32 v180, 16, v128
	s_wait_dscnt 0x6
	v_lshrrev_b32_e32 v182, 16, v129
	v_lshrrev_b32_e32 v184, 16, v130
	;; [unrolled: 3-line block ×5, first 2 shown]
	v_mul_f16_e64 v179, v127, v162
	v_mul_f16_e64 v181, v128, v163
	s_wait_dscnt 0x2
	v_lshrrev_b32_e32 v198, 16, v137
	v_lshrrev_b32_e32 v200, 16, v138
	s_wait_dscnt 0x1
	v_lshrrev_b32_e32 v202, 16, v139
	v_lshrrev_b32_e32 v204, 16, v140
	;; [unrolled: 3-line block ×3, first 2 shown]
	v_mul_f16_e64 v162, v178, v162
	v_mul_f16_e64 v163, v180, v163
	;; [unrolled: 1-line block ×24, first 2 shown]
	v_fmac_f16_e64 v179, v178, v47
	v_fmac_f16_e64 v181, v180, v52
	v_mul_f16_e64 v172, v198, v172
	v_mul_f16_e64 v173, v200, v173
	;; [unrolled: 1-line block ×6, first 2 shown]
	v_fma_f16 v47, v127, v47, -v162
	v_fma_f16 v52, v128, v52, -v163
	v_fmac_f16_e64 v183, v182, v115
	v_fmac_f16_e64 v185, v184, v143
	v_fma_f16 v115, v129, v115, -v164
	v_fma_f16 v127, v130, v143, -v165
	v_fmac_f16_e64 v187, v186, v144
	v_fmac_f16_e64 v189, v188, v145
	;; [unrolled: 4-line block ×5, first 2 shown]
	v_fmac_f16_e64 v203, v202, v152
	v_fmac_f16_e64 v205, v204, v153
	;; [unrolled: 1-line block ×4, first 2 shown]
	v_fma_f16 v134, v137, v150, -v172
	v_fma_f16 v135, v138, v151, -v173
	;; [unrolled: 1-line block ×6, first 2 shown]
	v_pack_b32_f16 v47, v47, v179
	v_pack_b32_f16 v52, v52, v181
	;; [unrolled: 1-line block ×16, first 2 shown]
	ds_store_2addr_b32 v55, v47, v52 offset0:90 offset1:180
	ds_store_2addr_b32 v156, v115, v127 offset0:14 offset1:104
	;; [unrolled: 1-line block ×8, first 2 shown]
.LBB0_13:
	s_wait_alu 0xfffe
	s_or_b32 exec_lo, exec_lo, s1
	global_wb scope:SCOPE_SE
	s_wait_dscnt 0x0
	s_barrier_signal -1
	s_barrier_wait -1
	global_inv scope:SCOPE_SE
	s_and_saveexec_b32 s1, vcc_lo
	s_cbranch_execz .LBB0_15
; %bb.14:
	v_add_nc_u32_e32 v35, 0x200, v58
	v_add_nc_u32_e32 v37, 0x400, v58
	;; [unrolled: 1-line block ×3, first 2 shown]
	ds_load_2addr_b32 v[39:40], v58 offset1:90
	ds_load_2addr_b32 v[45:46], v35 offset0:52 offset1:142
	v_add_nc_u32_e32 v35, 0xa00, v58
	ds_load_2addr_b32 v[42:43], v37 offset0:104 offset1:194
	v_add_nc_u32_e32 v37, 0xc00, v58
	ds_load_2addr_b32 v[49:50], v38 offset0:28 offset1:118
	v_add_nc_u32_e32 v38, 0x1000, v58
	ds_load_2addr_b32 v[47:48], v35 offset0:80 offset1:170
	v_add_nc_u32_e32 v35, 0x1200, v58
	ds_load_2addr_b32 v[53:54], v37 offset0:132 offset1:222
	ds_load_2addr_b32 v[51:52], v38 offset0:56 offset1:146
	;; [unrolled: 1-line block ×3, first 2 shown]
	ds_load_b32 v109, v58 offset:5760
	s_wait_dscnt 0x8
	v_lshrrev_b32_e32 v114, 16, v39
	v_lshrrev_b32_e32 v119, 16, v40
	s_wait_dscnt 0x7
	v_lshrrev_b32_e32 v120, 16, v45
	v_lshrrev_b32_e32 v113, 16, v46
	;; [unrolled: 3-line block ×5, first 2 shown]
	s_wait_dscnt 0x2
	v_mov_b32_e32 v41, v52
	v_lshrrev_b32_e32 v125, 16, v53
	v_lshrrev_b32_e32 v122, 16, v54
	;; [unrolled: 1-line block ×4, first 2 shown]
	s_wait_dscnt 0x1
	v_lshrrev_b32_e32 v117, 16, v37
	v_lshrrev_b32_e32 v108, 16, v38
	s_wait_dscnt 0x0
	v_lshrrev_b32_e32 v110, 16, v109
	v_mov_b32_e32 v44, v47
.LBB0_15:
	s_wait_alu 0xfffe
	s_or_b32 exec_lo, exec_lo, s1
	s_delay_alu instid0(VALU_DEP_2)
	v_sub_f16_e64 v188, v119, v110
	v_add_f16_e64 v153, v110, v119
	v_add_f16_e64 v187, v109, v40
	v_sub_f16_e64 v155, v120, v108
	v_sub_f16_e32 v127, v40, v109
	v_mul_f16_e64 v189, 0xb5c8, v188
	v_mul_f16_e64 v60, 0x3b76, v153
	v_add_f16_e64 v128, v38, v45
	v_add_f16_e64 v158, v108, v120
	v_mul_f16_e64 v61, 0xb964, v155
	v_fma_f16 v35, v187, 0x3b76, -v189
	v_fmamk_f16 v47, v127, 0xb5c8, v60
	v_mul_f16_e64 v190, 0xb964, v188
	v_mul_f16_e64 v150, 0x39e9, v153
	v_fma_f16 v130, v128, 0x39e9, -v61
	v_add_f16_e32 v35, v39, v35
	v_sub_f16_e64 v129, v45, v38
	v_mul_f16_e64 v168, 0x39e9, v158
	v_sub_f16_e64 v162, v113, v117
	v_add_f16_e32 v47, v114, v47
	v_fma_f16 v52, v187, 0x39e9, -v190
	v_fma_f16 v115, 0xb964, v127, v150
	v_add_f16_e64 v35, v130, v35
	v_fma_f16 v131, 0xb964, v129, v168
	v_mul_f16_e64 v151, 0xbbf7, v155
	v_mul_f16_e64 v156, 0x2de8, v158
	v_add_f16_e64 v130, v37, v46
	v_mul_f16_e64 v63, 0xbb29, v162
	v_add_f16_e64 v166, v117, v113
	v_add_f16_e32 v52, v39, v52
	v_add_f16_e32 v115, v114, v115
	v_add_f16_e64 v47, v131, v47
	v_fma_f16 v132, v128, 0x2de8, -v151
	v_fma_f16 v133, 0xbbf7, v129, v156
	v_fma_f16 v134, v130, 0x3722, -v63
	v_sub_f16_e64 v131, v46, v37
	v_mul_f16_e64 v170, 0x3722, v166
	v_sub_f16_e64 v167, v116, v111
	v_mul_f16_e64 v142, 0xba62, v162
	v_add_f16_e64 v52, v132, v52
	v_add_f16_e64 v115, v133, v115
	;; [unrolled: 1-line block ×3, first 2 shown]
	v_fma_f16 v133, 0xbb29, v131, v170
	v_mul_f16_e64 v161, 0xb8d2, v166
	v_add_f16_e64 v132, v41, v42
	v_mul_f16_e64 v172, 0xbbf7, v167
	v_add_f16_e64 v174, v111, v116
	v_fma_f16 v134, v130, 0xb8d2, -v142
	v_sub_f16_e64 v171, v126, v121
	v_add_f16_e64 v47, v133, v47
	v_fma_f16 v135, 0xba62, v131, v161
	v_fma_f16 v136, v132, 0x2de8, -v172
	v_sub_f16_e64 v133, v42, v41
	v_mul_f16_e64 v173, 0x2de8, v174
	v_add_f16_e64 v52, v134, v52
	v_mul_f16_e64 v145, 0xb1e1, v167
	v_mul_f16_e64 v159, 0xbbdd, v174
	v_add_f16_e64 v134, v51, v43
	v_mul_f16_e64 v175, 0xbbb2, v171
	v_add_f16_e64 v178, v121, v126
	v_add_f16_e64 v115, v135, v115
	;; [unrolled: 1-line block ×3, first 2 shown]
	v_fma_f16 v136, 0xbbf7, v133, v173
	v_fma_f16 v137, v132, 0xbbdd, -v145
	v_fma_f16 v138, 0xb1e1, v133, v159
	v_sub_f16_e64 v135, v43, v51
	v_fma_f16 v139, v134, 0xb461, -v175
	v_mul_f16_e64 v176, 0xb461, v178
	v_sub_f16_e64 v177, v124, v122
	v_mul_f16_e64 v148, 0x3836, v171
	v_add_f16_e64 v181, v122, v124
	v_mul_f16_e64 v152, 0xbacd, v178
	v_add_f16_e64 v47, v136, v47
	v_add_f16_e64 v52, v137, v52
	;; [unrolled: 1-line block ×4, first 2 shown]
	v_fma_f16 v138, 0xbbb2, v135, v176
	v_add_f16_e64 v136, v54, v49
	v_mul_f16_e64 v179, 0xba62, v177
	v_sub_f16_e64 v137, v49, v54
	v_mul_f16_e64 v78, 0xb8d2, v181
	v_fma_f16 v139, v134, 0xbacd, -v148
	v_fma_f16 v140, 0x3836, v135, v152
	v_mul_f16_e64 v149, 0x3bb2, v177
	v_add_f16_e64 v185, v125, v123
	v_fma_f16 v141, v136, 0xb8d2, -v179
	v_add_f16_e64 v47, v138, v47
	v_fma_f16 v138, 0xba62, v137, v78
	v_add_f16_e64 v52, v139, v52
	v_add_f16_e64 v115, v140, v115
	v_sub_f16_e64 v183, v123, v125
	v_mul_f16_e64 v164, 0xb461, v181
	v_fma_f16 v139, v136, 0xb461, -v149
	v_sub_f16_e64 v140, v50, v53
	v_mul_f16_e64 v144, 0xbacd, v185
	v_add_f16_e64 v35, v141, v35
	v_add_f16_e64 v47, v138, v47
	;; [unrolled: 1-line block ×3, first 2 shown]
	v_mul_f16_e64 v143, 0xb836, v183
	v_mul_f16_e64 v154, 0x3b29, v183
	v_fma_f16 v141, 0x3bb2, v137, v164
	v_add_f16_e64 v52, v139, v52
	v_fma_f16 v139, 0xb836, v140, v144
	v_mul_f16_e64 v157, 0x3722, v185
	v_sub_f16_e64 v184, v112, v118
	v_add_f16_e64 v186, v118, v112
	v_fma_f16 v165, v138, 0xbacd, -v143
	v_fma_f16 v169, v138, 0x3722, -v154
	v_add_f16_e64 v115, v141, v115
	v_add_f16_e64 v47, v139, v47
	v_fma_f16 v191, 0x3b29, v140, v157
	v_add_f16_e64 v139, v48, v44
	v_sub_f16_e64 v141, v44, v48
	v_mul_f16_e64 v146, 0xb1e1, v184
	v_mul_f16_e64 v147, 0xbbdd, v186
	;; [unrolled: 1-line block ×4, first 2 shown]
	v_add_f16_e64 v35, v165, v35
	v_add_f16_e64 v52, v169, v52
	v_add_f16_e64 v191, v191, v115
	v_fma_f16 v115, v139, 0xbbdd, -v146
	v_fma_f16 v192, 0xb1e1, v141, v147
	v_fma_f16 v193, v139, 0x3b76, -v160
	v_fma_f16 v194, 0x35c8, v141, v163
	global_wb scope:SCOPE_SE
	v_add_f16_e32 v35, v115, v35
	v_add_f16_e64 v47, v192, v47
	v_add_f16_e64 v115, v193, v52
	;; [unrolled: 1-line block ×3, first 2 shown]
	s_barrier_signal -1
	s_barrier_wait -1
	global_inv scope:SCOPE_SE
	s_and_saveexec_b32 s1, vcc_lo
	s_cbranch_execz .LBB0_17
; %bb.16:
	v_add_f16_e32 v40, v40, v39
	v_mul_f16_e64 v203, 0x3722, v158
	v_mov_b32_e32 v91, v98
	v_mov_b32_e32 v93, v213
	v_add_f16_e32 v119, v119, v114
	v_add_f16_e32 v40, v45, v40
	v_mul_f16_e64 v45, 0xba62, v188
	v_fma_f16 v204, 0xbb29, v129, v203
	v_fmac_f16_e64 v203, 0x3b29, v129
	v_add_f16_e32 v119, v120, v119
	v_add_f16_e32 v40, v46, v40
	v_mul_f16_e64 v46, 0xbbb2, v188
	v_mul_f16_e64 v235, 0xbacd, v158
	;; [unrolled: 1-line block ×3, first 2 shown]
	v_add_f16_e32 v113, v113, v119
	v_add_f16_e32 v40, v42, v40
	v_mul_f16_e64 v42, 0x3b76, v187
	v_mul_f16_e32 v119, 0xb5c8, v127
	v_fma_f16 v236, 0xb836, v129, v235
	v_add_f16_e32 v113, v116, v113
	v_add_f16_e32 v40, v43, v40
	v_add_f16_e64 v42, v42, v189
	v_mul_f16_e64 v43, 0xb1e1, v188
	v_fma_f16 v252, 0x31e1, v129, v251
	v_add_f16_e32 v113, v126, v113
	v_add_f16_e32 v40, v49, v40
	v_mul_f16_e64 v49, 0xbb29, v188
	v_add_f16_e32 v42, v39, v42
	v_mul_f16_e64 v126, 0x39e9, v128
	v_add_f16_e32 v113, v124, v113
	v_add_f16_e32 v40, v50, v40
	v_fma_f16 v189, 0x3722, v187, v49
	v_fma_f16 v50, 0xbbdd, v187, v43
	v_fma_f16 v43, v187, 0xbbdd, -v43
	v_fma_f16 v49, v187, 0x3722, -v49
	v_add_f16_e32 v40, v44, v40
	v_mul_f16_e64 v44, 0xb836, v188
	v_add_f16_e32 v50, v39, v50
	v_add_f16_e32 v43, v39, v43
	;; [unrolled: 1-line block ×4, first 2 shown]
	v_mul_f16_e64 v48, 0xbbf7, v188
	v_mul_f16_e64 v124, 0x3722, v130
	v_fmac_f16_e64 v251, 0xb1e1, v129
	v_add_f16_e32 v112, v112, v113
	v_add_f16_e32 v40, v53, v40
	v_fma_f16 v188, 0x2de8, v187, v48
	v_fma_f16 v53, 0xb8d2, v187, v45
	v_fma_f16 v45, v187, 0xb8d2, -v45
	v_fma_f16 v48, v187, 0x2de8, -v48
	v_add_f16_e32 v40, v54, v40
	v_fma_f16 v54, 0xb461, v187, v46
	v_fma_f16 v46, v187, 0xb461, -v46
	v_add_f16_e32 v53, v39, v53
	v_add_f16_e32 v112, v118, v112
	;; [unrolled: 1-line block ×3, first 2 shown]
	v_fma_f16 v51, 0xbacd, v187, v44
	v_fma_f16 v44, v187, 0xbacd, -v44
	v_add_f16_e32 v54, v39, v54
	v_add_f16_e32 v112, v125, v112
	;; [unrolled: 1-line block ×3, first 2 shown]
	v_mul_f16_e64 v40, 0x39e9, v187
	v_add_f16_e64 v187, v39, v188
	v_add_f16_e64 v188, v39, v189
	v_add_f16_e32 v51, v39, v51
	v_add_f16_e32 v37, v37, v41
	v_add_f16_e64 v40, v40, v190
	v_mul_f16_e64 v190, 0x35c8, v155
	v_add_f16_e32 v112, v122, v112
	v_mul_f16_e64 v118, 0xba62, v137
	v_add_f16_e32 v41, v38, v37
	v_add_f16_e64 v189, v39, v40
	v_add_f16_e32 v40, v39, v44
	v_add_f16_e32 v112, v121, v112
	v_mul_f16_e64 v113, 0x2de8, v132
	v_add_f16_e32 v41, v109, v41
	v_mul_f16_e64 v116, 0xb964, v129
	scratch_store_b32 off, v40, off offset:28 ; 4-byte Folded Spill
	v_add_f16_e32 v40, v39, v45
	v_add_f16_e32 v111, v111, v112
	v_mov_b32_e32 v45, v83
	v_mov_b32_e32 v83, v81
	;; [unrolled: 1-line block ×3, first 2 shown]
	scratch_store_b32 off, v40, off offset:24 ; 4-byte Folded Spill
	v_add_f16_e32 v40, v39, v46
	v_dual_mov_b32 v46, v115 :: v_dual_mov_b32 v115, v52
	v_dual_mov_b32 v52, v47 :: v_dual_mov_b32 v47, v56
	scratch_store_b32 off, v40, off offset:20 ; 4-byte Folded Spill
	v_add_f16_e32 v40, v39, v48
	v_mul_f16_e64 v48, 0xbbdd, v153
	v_add_f16_e32 v39, v39, v49
	v_mul_f16_e64 v49, 0x3b76, v158
	v_dual_mov_b32 v56, v99 :: v_dual_mov_b32 v99, v86
	s_delay_alu instid0(VALU_DEP_4) | instskip(SKIP_1) | instid1(VALU_DEP_4)
	v_fmamk_f16 v37, v127, 0x31e1, v48
	v_mov_b32_e32 v86, v24
	v_fma_f16 v38, 0xb5c8, v129, v49
	v_dual_mov_b32 v80, v79 :: v_dual_mov_b32 v79, v77
	v_mov_b32_e32 v98, v85
	v_add_f16_e32 v37, v114, v37
	v_dual_mov_b32 v77, v74 :: v_dual_mov_b32 v44, v87
	v_dual_mov_b32 v74, v73 :: v_dual_mov_b32 v73, v210
	v_mov_b32_e32 v182, v89
	s_delay_alu instid0(VALU_DEP_4)
	v_add_f16_e32 v37, v38, v37
	v_fma_f16 v38, 0x3b76, v128, v190
	v_mov_b32_e32 v85, v211
	v_mov_b32_e32 v87, v212
	v_fmac_f16_e32 v48, 0xb1e1, v127
	v_fmac_f16_e64 v49, 0x35c8, v129
	v_add_f16_e32 v38, v38, v50
	v_mul_f16_e64 v50, 0xbacd, v166
	v_mov_b32_e32 v89, v214
	v_add_f16_e32 v48, v114, v48
	v_add_f16_e32 v111, v117, v111
	v_add_f16_e64 v113, v113, v172
	v_fma_f16 v191, 0x3836, v131, v50
	v_fmac_f16_e64 v50, 0xb836, v131
	v_add_f16_e32 v48, v49, v48
	v_fma_f16 v49, v128, 0x3b76, -v190
	v_add_f16_e32 v108, v108, v111
	v_add_f16_e64 v37, v191, v37
	v_mul_f16_e64 v191, 0x39e9, v174
	v_add_f16_e32 v48, v50, v48
	v_add_f16_e32 v43, v49, v43
	;; [unrolled: 1-line block ×3, first 2 shown]
	v_sub_f16_e64 v116, v168, v116
	v_fma_f16 v192, 0xb964, v133, v191
	v_mul_f16_e64 v112, 0xb1e1, v141
	v_mul_f16_e64 v120, 0x35c8, v141
	v_pack_b32_f16 v41, v41, v108
	v_fmac_f16_e64 v235, 0x3836, v129
	v_add_f16_e64 v37, v192, v37
	v_mul_f16_e64 v192, 0xb8d2, v178
	v_sub_f16_e64 v112, v147, v112
	v_sub_f16_e64 v120, v163, v120
	v_fmac_f16_e64 v191, 0x3964, v133
	v_mov_b32_e32 v165, v61
	v_fma_f16 v193, 0x3a62, v135, v192
	v_fmac_f16_e64 v192, 0xba62, v135
	v_mov_b32_e32 v180, v72
	v_dual_mov_b32 v72, v78 :: v_dual_mov_b32 v169, v63
	s_delay_alu instid0(VALU_DEP_4)
	v_add_f16_e64 v37, v193, v37
	v_mul_f16_e64 v193, 0xb836, v162
	v_add_f16_e64 v126, v126, v165
	v_add_f16_e64 v48, v191, v48
	v_sub_f16_e32 v118, v72, v118
	v_mov_b32_e32 v72, v180
	v_fma_f16 v194, 0xbacd, v130, v193
	v_fma_f16 v49, v130, 0xbacd, -v193
	v_add_f16_e32 v42, v126, v42
	v_add_f16_e64 v124, v124, v169
	v_add_f16_e64 v48, v192, v48
	;; [unrolled: 1-line block ×3, first 2 shown]
	v_mul_f16_e64 v194, 0x3722, v181
	v_add_f16_e32 v43, v49, v43
	v_add_f16_e32 v42, v124, v42
	s_delay_alu instid0(VALU_DEP_3) | instskip(SKIP_1) | instid1(VALU_DEP_3)
	v_fma_f16 v195, 0xbb29, v137, v194
	v_fmac_f16_e64 v194, 0x3b29, v137
	v_add_f16_e32 v42, v113, v42
	v_mul_f16_e64 v113, 0xb461, v134
	s_delay_alu instid0(VALU_DEP_4) | instskip(SKIP_2) | instid1(VALU_DEP_4)
	v_add_f16_e64 v37, v195, v37
	v_mul_f16_e64 v195, 0x3964, v167
	v_add_f16_e64 v48, v194, v48
	v_add_f16_e64 v113, v113, v175
	s_delay_alu instid0(VALU_DEP_3) | instskip(SKIP_1) | instid1(VALU_DEP_3)
	v_fma_f16 v196, 0x39e9, v132, v195
	v_fma_f16 v50, v132, 0x39e9, -v195
	v_add_f16_e32 v42, v113, v42
	v_mul_f16_e64 v113, 0xb8d2, v136
	s_delay_alu instid0(VALU_DEP_4) | instskip(SKIP_2) | instid1(VALU_DEP_4)
	v_add_f16_e64 v38, v196, v38
	v_mul_f16_e64 v196, 0xb461, v185
	v_add_f16_e32 v43, v50, v43
	v_add_f16_e64 v113, v113, v179
	s_delay_alu instid0(VALU_DEP_3) | instskip(SKIP_1) | instid1(VALU_DEP_3)
	v_fma_f16 v197, 0x3bb2, v140, v196
	v_fmac_f16_e64 v196, 0xbbb2, v140
	v_add_f16_e32 v42, v113, v42
	v_mul_f16_e64 v113, 0xbacd, v138
	s_delay_alu instid0(VALU_DEP_4) | instskip(SKIP_2) | instid1(VALU_DEP_4)
	v_add_f16_e64 v37, v197, v37
	v_mul_f16_e64 v197, 0xba62, v171
	v_add_f16_e64 v48, v196, v48
	v_add_f16_e64 v113, v113, v143
	s_delay_alu instid0(VALU_DEP_3) | instskip(SKIP_1) | instid1(VALU_DEP_3)
	v_fma_f16 v198, 0xb8d2, v134, v197
	v_fma_f16 v50, v134, 0xb8d2, -v197
	v_add_f16_e32 v42, v113, v42
	v_mul_f16_e64 v113, 0xbbdd, v139
	s_delay_alu instid0(VALU_DEP_4) | instskip(SKIP_2) | instid1(VALU_DEP_4)
	v_add_f16_e64 v38, v198, v38
	v_mul_f16_e64 v198, 0x3b29, v177
	v_add_f16_e32 v43, v50, v43
	v_add_f16_e64 v113, v113, v146
	s_delay_alu instid0(VALU_DEP_3) | instskip(SKIP_1) | instid1(VALU_DEP_3)
	v_fma_f16 v199, 0x3722, v136, v198
	v_fma_f16 v50, v136, 0x3722, -v198
	v_add_f16_e32 v42, v113, v42
	s_delay_alu instid0(VALU_DEP_3) | instskip(SKIP_1) | instid1(VALU_DEP_4)
	v_add_f16_e64 v38, v199, v38
	v_mul_f16_e64 v199, 0x2de8, v186
	v_add_f16_e32 v43, v50, v43
	s_delay_alu instid0(VALU_DEP_2) | instskip(SKIP_1) | instid1(VALU_DEP_2)
	v_fma_f16 v200, 0xbbf7, v141, v199
	v_fmac_f16_e64 v199, 0x3bf7, v141
	v_add_f16_e64 v37, v200, v37
	v_mul_f16_e64 v200, 0xbbb2, v183
	scratch_store_b32 off, v39, off offset:4 ; 4-byte Folded Spill
	v_mov_b32_e32 v39, v95
	v_mov_b32_e32 v95, v220
	scratch_store_b32 off, v37, off         ; 4-byte Folded Spill
	v_fma_f16 v201, 0xb461, v138, v200
	v_fma_f16 v50, v138, 0xb461, -v200
	v_mov_b32_e32 v37, v107
	v_dual_mov_b32 v107, v94 :: v_dual_mov_b32 v94, v219
	s_delay_alu instid0(VALU_DEP_4) | instskip(SKIP_4) | instid1(VALU_DEP_4)
	v_add_f16_e64 v38, v201, v38
	v_mul_f16_e64 v201, 0xbacd, v153
	v_add_f16_e32 v43, v50, v43
	v_mul_f16_e64 v219, 0xb461, v158
	v_add_f16_e64 v48, v199, v48
	v_fma_f16 v202, 0x3836, v127, v201
	v_fmac_f16_e64 v201, 0xb836, v127
	s_delay_alu instid0(VALU_DEP_4) | instskip(SKIP_1) | instid1(VALU_DEP_4)
	v_fma_f16 v220, 0xbbb2, v129, v219
	v_fmac_f16_e64 v219, 0x3bb2, v129
	v_add_f16_e64 v202, v114, v202
	s_delay_alu instid0(VALU_DEP_4) | instskip(NEXT) | instid1(VALU_DEP_2)
	v_add_f16_e64 v49, v114, v201
	v_add_f16_e64 v202, v204, v202
	v_mul_f16_e64 v204, 0x2de8, v166
	s_delay_alu instid0(VALU_DEP_3) | instskip(NEXT) | instid1(VALU_DEP_2)
	v_add_f16_e64 v49, v203, v49
	v_fma_f16 v205, 0x3bf7, v131, v204
	v_fmac_f16_e64 v204, 0xbbf7, v131
	s_delay_alu instid0(VALU_DEP_2) | instskip(SKIP_1) | instid1(VALU_DEP_3)
	v_add_f16_e64 v202, v205, v202
	v_mul_f16_e64 v205, 0xb8d2, v174
	v_add_f16_e64 v49, v204, v49
	s_delay_alu instid0(VALU_DEP_2) | instskip(SKIP_1) | instid1(VALU_DEP_2)
	v_fma_f16 v206, 0xba62, v133, v205
	v_fmac_f16_e64 v205, 0x3a62, v133
	v_add_f16_e64 v202, v206, v202
	v_mul_f16_e64 v206, 0x3b29, v155
	s_delay_alu instid0(VALU_DEP_3) | instskip(NEXT) | instid1(VALU_DEP_2)
	v_add_f16_e64 v49, v205, v49
	v_fma_f16 v207, 0x3722, v128, v206
	s_delay_alu instid0(VALU_DEP_1) | instskip(SKIP_1) | instid1(VALU_DEP_1)
	v_add_f16_e64 v51, v207, v51
	v_mul_f16_e64 v207, 0x3b76, v178
	v_fma_f16 v208, 0x35c8, v135, v207
	v_fmac_f16_e64 v207, 0xb5c8, v135
	s_delay_alu instid0(VALU_DEP_2) | instskip(SKIP_1) | instid1(VALU_DEP_3)
	v_add_f16_e64 v202, v208, v202
	v_mul_f16_e64 v208, 0xbbf7, v162
	v_add_f16_e64 v49, v207, v49
	s_delay_alu instid0(VALU_DEP_2) | instskip(SKIP_1) | instid1(VALU_DEP_2)
	v_fma_f16 v209, 0x2de8, v130, v208
	v_fma_f16 v109, v130, 0x2de8, -v208
	v_add_f16_e64 v51, v209, v51
	v_mul_f16_e64 v209, 0xbbdd, v181
	s_delay_alu instid0(VALU_DEP_1) | instskip(SKIP_1) | instid1(VALU_DEP_2)
	v_fma_f16 v210, 0x31e1, v137, v209
	v_fmac_f16_e64 v209, 0xb1e1, v137
	v_add_f16_e64 v202, v210, v202
	v_mul_f16_e64 v210, 0x3bf7, v184
	s_delay_alu instid0(VALU_DEP_3) | instskip(NEXT) | instid1(VALU_DEP_2)
	v_add_f16_e64 v49, v209, v49
	v_fma_f16 v211, 0x2de8, v139, v210
	v_fma_f16 v50, v139, 0x2de8, -v210
	v_dual_mov_b32 v210, v73 :: v_dual_mov_b32 v73, v74
	v_dual_mov_b32 v74, v77 :: v_dual_mov_b32 v77, v79
	s_delay_alu instid0(VALU_DEP_4)
	v_add_f16_e64 v24, v211, v38
	v_mul_f16_e64 v211, 0x3a62, v167
	scratch_store_b32 off, v40, off offset:8 ; 4-byte Folded Spill
	v_mov_b32_e32 v40, v90
	v_mov_b32_e32 v90, v215
	scratch_store_b32 off, v24, off offset:12 ; 4-byte Folded Spill
	v_fma_f16 v212, 0xb8d2, v132, v211
	v_dual_mov_b32 v38, v105 :: v_dual_mov_b32 v105, v92
	v_dual_mov_b32 v79, v80 :: v_dual_mov_b32 v80, v81
	s_delay_alu instid0(VALU_DEP_3) | instskip(SKIP_4) | instid1(VALU_DEP_4)
	v_add_f16_e64 v51, v212, v51
	v_mul_f16_e64 v212, 0x39e9, v185
	v_mov_b32_e32 v81, v83
	v_dual_mov_b32 v83, v45 :: v_dual_mov_b32 v92, v217
	v_add_f16_e32 v43, v50, v43
	v_fma_f16 v213, 0xb964, v140, v212
	v_fmac_f16_e64 v212, 0x3964, v140
	v_fma_f16 v50, v128, 0x3722, -v206
	s_delay_alu instid0(VALU_DEP_3) | instskip(SKIP_1) | instid1(VALU_DEP_4)
	v_add_f16_e64 v202, v213, v202
	v_mul_f16_e64 v213, 0xb5c8, v171
	v_add_f16_e64 v49, v212, v49
	v_dual_mov_b32 v212, v87 :: v_dual_mov_b32 v87, v44
	s_delay_alu instid0(VALU_DEP_3) | instskip(NEXT) | instid1(VALU_DEP_1)
	v_fma_f16 v214, 0x3b76, v134, v213
	v_add_f16_e64 v51, v214, v51
	v_mul_f16_e64 v214, 0xb1e1, v177
	s_delay_alu instid0(VALU_DEP_1) | instskip(NEXT) | instid1(VALU_DEP_1)
	v_fma_f16 v215, 0xbbdd, v136, v214
	v_add_f16_e64 v51, v215, v51
	v_mul_f16_e64 v215, 0xb461, v186
	s_delay_alu instid0(VALU_DEP_1) | instskip(SKIP_1) | instid1(VALU_DEP_2)
	v_fma_f16 v216, 0x3bb2, v141, v215
	v_fmac_f16_e64 v215, 0xbbb2, v141
	v_add_f16_e64 v24, v216, v202
	s_delay_alu instid0(VALU_DEP_2)
	v_add_f16_e64 v49, v215, v49
	v_dual_mov_b32 v215, v90 :: v_dual_mov_b32 v90, v40
	scratch_load_b32 v40, off, off offset:28 th:TH_LOAD_LU ; 4-byte Folded Reload
	scratch_store_b32 off, v24, off offset:16 ; 4-byte Folded Spill
	v_mov_b32_e32 v24, v60
	v_mul_f16_e64 v216, 0x3964, v183
	v_mov_b32_e32 v202, v106
	s_delay_alu instid0(VALU_DEP_3)
	v_sub_f16_e32 v119, v24, v119
	v_mov_b32_e32 v24, v86
	v_dual_mov_b32 v86, v99 :: v_dual_mov_b32 v99, v56
	v_dual_mov_b32 v56, v47 :: v_dual_mov_b32 v47, v52
	;; [unrolled: 1-line block ×3, first 2 shown]
	v_fma_f16 v217, 0x39e9, v138, v216
	v_add_f16_e32 v119, v114, v119
	s_delay_alu instid0(VALU_DEP_2) | instskip(SKIP_1) | instid1(VALU_DEP_3)
	v_add_f16_e64 v51, v217, v51
	v_mul_f16_e64 v217, 0xb8d2, v153
	v_add_f16_e32 v116, v116, v119
	v_mul_f16_e64 v119, 0xbb29, v131
	s_delay_alu instid0(VALU_DEP_3) | instskip(SKIP_1) | instid1(VALU_DEP_3)
	v_fma_f16 v218, 0x3a62, v127, v217
	v_fmac_f16_e64 v217, 0xba62, v127
	v_sub_f16_e64 v119, v170, v119
	s_delay_alu instid0(VALU_DEP_3) | instskip(NEXT) | instid1(VALU_DEP_2)
	v_add_f16_e64 v218, v114, v218
	v_add_f16_e32 v116, v119, v116
	v_mul_f16_e64 v119, 0xbbf7, v133
	s_delay_alu instid0(VALU_DEP_3) | instskip(SKIP_1) | instid1(VALU_DEP_3)
	v_add_f16_e64 v218, v220, v218
	v_mul_f16_e64 v220, 0x3b76, v166
	v_sub_f16_e64 v119, v173, v119
	s_delay_alu instid0(VALU_DEP_2) | instskip(SKIP_1) | instid1(VALU_DEP_3)
	v_fma_f16 v221, 0x35c8, v131, v220
	v_fmac_f16_e64 v220, 0xb5c8, v131
	v_add_f16_e32 v116, v119, v116
	v_mul_f16_e64 v119, 0xbbb2, v135
	s_delay_alu instid0(VALU_DEP_4) | instskip(SKIP_1) | instid1(VALU_DEP_3)
	v_add_f16_e64 v218, v221, v218
	v_mul_f16_e64 v221, 0xbacd, v174
	v_sub_f16_e64 v119, v176, v119
	s_delay_alu instid0(VALU_DEP_2) | instskip(SKIP_1) | instid1(VALU_DEP_3)
	v_fma_f16 v222, 0x3836, v133, v221
	v_fmac_f16_e64 v221, 0xb836, v133
	v_add_f16_e32 v116, v119, v116
	s_delay_alu instid0(VALU_DEP_3) | instskip(SKIP_1) | instid1(VALU_DEP_3)
	v_add_f16_e64 v218, v222, v218
	v_mul_f16_e64 v222, 0x3bb2, v155
	v_add_f16_e32 v116, v118, v116
	v_mul_f16_e64 v118, 0xb836, v140
	s_delay_alu instid0(VALU_DEP_3) | instskip(NEXT) | instid1(VALU_DEP_2)
	v_fma_f16 v223, 0xb461, v128, v222
	v_sub_f16_e64 v118, v144, v118
	s_delay_alu instid0(VALU_DEP_2) | instskip(SKIP_1) | instid1(VALU_DEP_3)
	v_add_f16_e64 v53, v223, v53
	v_mul_f16_e64 v223, 0x2de8, v178
	v_add_f16_e32 v116, v118, v116
	s_delay_alu instid0(VALU_DEP_2) | instskip(NEXT) | instid1(VALU_DEP_2)
	v_fma_f16 v224, 0xbbf7, v135, v223
	v_add_f16_e32 v112, v112, v116
	v_fmac_f16_e64 v223, 0x3bf7, v135
	s_delay_alu instid0(VALU_DEP_3) | instskip(SKIP_1) | instid1(VALU_DEP_4)
	v_add_f16_e64 v218, v224, v218
	v_mul_f16_e64 v224, 0xb5c8, v162
	v_pack_b32_f16 v42, v42, v112
	s_delay_alu instid0(VALU_DEP_2) | instskip(NEXT) | instid1(VALU_DEP_1)
	v_fma_f16 v225, 0x3b76, v130, v224
	v_add_f16_e64 v53, v225, v53
	v_mul_f16_e64 v225, 0x39e9, v181
	s_delay_alu instid0(VALU_DEP_1) | instskip(SKIP_1) | instid1(VALU_DEP_2)
	v_fma_f16 v226, 0x3964, v137, v225
	v_fmac_f16_e64 v225, 0xb964, v137
	v_add_f16_e64 v218, v226, v218
	v_mul_f16_e64 v226, 0xbbb2, v184
	s_delay_alu instid0(VALU_DEP_1) | instskip(NEXT) | instid1(VALU_DEP_1)
	v_fma_f16 v227, 0xb461, v139, v226
	v_add_f16_e64 v106, v227, v51
	v_mov_b32_e32 v51, v75
	v_dual_mov_b32 v75, v96 :: v_dual_mov_b32 v96, v84
	v_mov_b32_e32 v84, v82
	v_mul_f16_e64 v227, 0xb836, v167
	v_mov_b32_e32 v82, v68
	v_mov_b32_e32 v68, v57
	s_delay_alu instid0(VALU_DEP_3) | instskip(NEXT) | instid1(VALU_DEP_1)
	v_fma_f16 v228, 0xbacd, v132, v227
	v_add_f16_e64 v53, v228, v53
	v_mul_f16_e64 v228, 0xbbdd, v185
	s_delay_alu instid0(VALU_DEP_1) | instskip(SKIP_1) | instid1(VALU_DEP_2)
	v_fma_f16 v229, 0x31e1, v140, v228
	v_fmac_f16_e64 v228, 0xb1e1, v140
	v_add_f16_e64 v218, v229, v218
	v_mul_f16_e64 v229, 0x3bf7, v171
	s_delay_alu instid0(VALU_DEP_1) | instskip(NEXT) | instid1(VALU_DEP_1)
	v_fma_f16 v230, 0x2de8, v134, v229
	v_add_f16_e64 v53, v230, v53
	v_mul_f16_e64 v230, 0xb964, v177
	s_delay_alu instid0(VALU_DEP_1) | instskip(NEXT) | instid1(VALU_DEP_1)
	v_fma_f16 v231, 0x39e9, v136, v230
	v_add_f16_e64 v53, v231, v53
	v_mul_f16_e64 v231, 0x3722, v186
	s_delay_alu instid0(VALU_DEP_1) | instskip(SKIP_1) | instid1(VALU_DEP_2)
	v_fma_f16 v232, 0xbb29, v141, v231
	v_fmac_f16_e64 v231, 0x3b29, v141
	v_add_f16_e64 v218, v232, v218
	v_mul_f16_e64 v232, 0xb1e1, v183
	s_delay_alu instid0(VALU_DEP_1) | instskip(NEXT) | instid1(VALU_DEP_1)
	v_fma_f16 v233, 0xbbdd, v138, v232
	v_add_f16_e64 v53, v233, v53
	v_mul_f16_e64 v233, 0xb461, v153
	s_delay_alu instid0(VALU_DEP_1) | instskip(SKIP_1) | instid1(VALU_DEP_2)
	v_fma_f16 v234, 0x3bb2, v127, v233
	v_fmac_f16_e64 v233, 0xbbb2, v127
	v_add_f16_e64 v234, v114, v234
	s_delay_alu instid0(VALU_DEP_1) | instskip(SKIP_1) | instid1(VALU_DEP_1)
	v_add_f16_e64 v234, v236, v234
	v_mul_f16_e64 v236, 0x39e9, v166
	v_fma_f16 v237, 0xb964, v131, v236
	v_fmac_f16_e64 v236, 0x3964, v131
	s_delay_alu instid0(VALU_DEP_2) | instskip(SKIP_1) | instid1(VALU_DEP_1)
	v_add_f16_e64 v234, v237, v234
	v_mul_f16_e64 v237, 0x3722, v174
	v_fma_f16 v238, 0x3b29, v133, v237
	v_fmac_f16_e64 v237, 0xbb29, v133
	s_delay_alu instid0(VALU_DEP_2) | instskip(SKIP_1) | instid1(VALU_DEP_1)
	v_add_f16_e64 v234, v238, v234
	v_mul_f16_e64 v238, 0x3836, v155
	v_fma_f16 v110, v128, 0xbacd, -v238
	v_fma_f16 v239, 0xbacd, v128, v238
	s_delay_alu instid0(VALU_DEP_1) | instskip(SKIP_1) | instid1(VALU_DEP_1)
	v_add_f16_e64 v54, v239, v54
	v_mul_f16_e64 v239, 0xbbdd, v178
	v_fma_f16 v240, 0x31e1, v135, v239
	v_fmac_f16_e64 v239, 0xb1e1, v135
	s_delay_alu instid0(VALU_DEP_2) | instskip(SKIP_1) | instid1(VALU_DEP_1)
	v_add_f16_e64 v234, v240, v234
	v_mul_f16_e64 v240, 0x3964, v162
	v_fma_f16 v241, 0x39e9, v130, v240
	s_delay_alu instid0(VALU_DEP_1) | instskip(SKIP_1) | instid1(VALU_DEP_1)
	v_add_f16_e64 v54, v241, v54
	v_mul_f16_e64 v241, 0x2de8, v181
	v_fma_f16 v242, 0xbbf7, v137, v241
	v_fmac_f16_e64 v241, 0x3bf7, v137
	s_delay_alu instid0(VALU_DEP_2) | instskip(SKIP_1) | instid1(VALU_DEP_1)
	v_add_f16_e64 v234, v242, v234
	v_mul_f16_e64 v242, 0x3b29, v184
	v_fma_f16 v243, 0x3722, v139, v242
	s_delay_alu instid0(VALU_DEP_1) | instskip(SKIP_1) | instid1(VALU_DEP_2)
	v_add_f16_e64 v53, v243, v53
	v_mul_f16_e64 v243, 0xbb29, v167
	v_pack_b32_f16 v53, v53, v218
	s_delay_alu instid0(VALU_DEP_2) | instskip(SKIP_2) | instid1(VALU_DEP_3)
	v_fma_f16 v244, 0x3722, v132, v243
	v_fma_f16 v113, v132, 0x3722, -v243
	v_lshrrev_b32_e32 v218, 16, v29
	v_add_f16_e64 v54, v244, v54
	v_mul_f16_e64 v244, 0x3b76, v185
	s_delay_alu instid0(VALU_DEP_1) | instskip(SKIP_1) | instid1(VALU_DEP_2)
	v_fma_f16 v245, 0x35c8, v140, v244
	v_fmac_f16_e64 v244, 0xb5c8, v140
	v_add_f16_e64 v234, v245, v234
	v_mul_f16_e64 v245, 0xb1e1, v171
	s_delay_alu instid0(VALU_DEP_1) | instskip(NEXT) | instid1(VALU_DEP_1)
	v_fma_f16 v246, 0xbbdd, v134, v245
	v_add_f16_e64 v54, v246, v54
	v_mul_f16_e64 v246, 0x3bf7, v177
	s_delay_alu instid0(VALU_DEP_1)
	v_fma_f16 v247, 0x2de8, v136, v246
	s_wait_loadcnt 0x0
	v_add_f16_e32 v44, v50, v40
	v_add_f16_e64 v50, v114, v217
	v_mov_b32_e32 v217, v92
	v_add_f16_e64 v54, v247, v54
	v_mul_f16_e64 v247, 0xb8d2, v186
	v_add_f16_e32 v44, v109, v44
	v_add_f16_e64 v50, v219, v50
	v_dual_mov_b32 v219, v94 :: v_dual_mov_b32 v94, v107
	v_mov_b32_e32 v107, v37
	scratch_load_b32 v37, off, off offset:24 th:TH_LOAD_LU ; 4-byte Folded Reload
	v_fma_f16 v109, v128, 0xb461, -v222
	v_fma_f16 v248, 0x3a62, v141, v247
	v_dual_mov_b32 v92, v105 :: v_dual_mov_b32 v105, v38
	v_add_f16_e64 v50, v220, v50
	v_mov_b32_e32 v220, v95
	s_delay_alu instid0(VALU_DEP_4) | instskip(SKIP_4) | instid1(VALU_DEP_4)
	v_add_f16_e64 v234, v248, v234
	v_mul_f16_e64 v248, 0xb5c8, v183
	v_mov_b32_e32 v95, v39
	v_add_f16_e64 v50, v221, v50
	v_fmac_f16_e64 v247, 0xba62, v141
	v_fma_f16 v249, 0x3b76, v138, v248
	s_delay_alu instid0(VALU_DEP_3) | instskip(NEXT) | instid1(VALU_DEP_2)
	v_add_f16_e64 v50, v223, v50
	v_add_f16_e64 v54, v249, v54
	v_mul_f16_e64 v249, 0x2de8, v153
	s_delay_alu instid0(VALU_DEP_3) | instskip(NEXT) | instid1(VALU_DEP_2)
	v_add_f16_e64 v50, v225, v50
	v_fma_f16 v250, 0x3bf7, v127, v249
	v_fmac_f16_e64 v249, 0xbbf7, v127
	s_delay_alu instid0(VALU_DEP_3) | instskip(NEXT) | instid1(VALU_DEP_3)
	v_add_f16_e64 v50, v228, v50
	v_add_f16_e64 v250, v114, v250
	s_delay_alu instid0(VALU_DEP_2) | instskip(NEXT) | instid1(VALU_DEP_2)
	v_add_f16_e64 v50, v231, v50
	v_add_f16_e64 v250, v252, v250
	v_mul_f16_e64 v252, 0xb461, v166
	s_delay_alu instid0(VALU_DEP_1) | instskip(SKIP_1) | instid1(VALU_DEP_2)
	v_fma_f16 v253, 0xbbb2, v131, v252
	v_fmac_f16_e64 v252, 0x3bb2, v131
	v_add_f16_e64 v250, v253, v250
	v_mul_f16_e64 v253, 0x3b76, v174
	s_delay_alu instid0(VALU_DEP_1) | instskip(SKIP_1) | instid1(VALU_DEP_2)
	v_fma_f16 v254, 0xb5c8, v133, v253
	v_fmac_f16_e64 v253, 0x35c8, v133
	v_add_f16_e64 v250, v254, v250
	v_mul_f16_e64 v254, 0xb1e1, v155
	v_mul_f16_e64 v155, 0xba62, v155
	s_delay_alu instid0(VALU_DEP_2) | instskip(NEXT) | instid1(VALU_DEP_1)
	v_fma_f16 v255, 0xbbdd, v128, v254
	v_add_f16_e64 v187, v255, v187
	v_mul_f16_e64 v255, 0x3722, v178
	v_mul_f16_e64 v178, 0x39e9, v178
	s_delay_alu instid0(VALU_DEP_2) | instskip(SKIP_1) | instid1(VALU_DEP_2)
	v_fma_f16 v57, 0x3b29, v135, v255
	v_fmac_f16_e64 v255, 0xbb29, v135
	v_add_f16_e64 v57, v57, v250
	v_mul_f16_e64 v250, 0x3bb2, v162
	v_mul_f16_e64 v162, 0x31e1, v162
	s_delay_alu instid0(VALU_DEP_2) | instskip(NEXT) | instid1(VALU_DEP_1)
	v_fma_f16 v65, 0xb461, v130, v250
	v_add_f16_e64 v65, v65, v187
	v_mul_f16_e64 v187, 0xbacd, v181
	s_delay_alu instid0(VALU_DEP_1) | instskip(SKIP_1) | instid1(VALU_DEP_2)
	v_fma_f16 v69, 0x3836, v137, v187
	v_fmac_f16_e64 v187, 0xb836, v137
	v_add_f16_e32 v57, v69, v57
	v_mul_f16_e64 v69, 0xba62, v184
	s_delay_alu instid0(VALU_DEP_1) | instskip(SKIP_1) | instid1(VALU_DEP_2)
	v_fma_f16 v70, 0xb8d2, v139, v69
	v_fma_f16 v69, v139, 0xb8d2, -v69
	v_add_f16_e32 v54, v70, v54
	v_mul_f16_e64 v70, 0x35c8, v167
	v_mul_f16_e64 v167, 0x3bb2, v167
	s_delay_alu instid0(VALU_DEP_3) | instskip(NEXT) | instid1(VALU_DEP_3)
	v_pack_b32_f16 v54, v54, v234
	v_fma_f16 v71, 0x3b76, v132, v70
	v_fma_f16 v70, v132, 0x3b76, -v70
	s_delay_alu instid0(VALU_DEP_2) | instskip(SKIP_1) | instid1(VALU_DEP_1)
	v_add_f16_e32 v65, v71, v65
	v_mul_f16_e64 v71, 0xb8d2, v185
	v_fma_f16 v76, 0xba62, v140, v71
	v_fmac_f16_e64 v71, 0x3a62, v140
	s_delay_alu instid0(VALU_DEP_2) | instskip(SKIP_2) | instid1(VALU_DEP_2)
	v_add_f16_e32 v57, v76, v57
	v_mul_f16_e64 v76, 0xbb29, v171
	v_mul_f16_e64 v171, 0x3964, v171
	v_fma_f16 v78, 0x3722, v134, v76
	s_delay_alu instid0(VALU_DEP_1) | instskip(SKIP_2) | instid1(VALU_DEP_2)
	v_add_f16_e32 v65, v78, v65
	v_mul_f16_e64 v78, 0xb836, v177
	v_mul_f16_e64 v177, 0xb5c8, v177
	v_fma_f16 v60, 0xbacd, v136, v78
	s_delay_alu instid0(VALU_DEP_1) | instskip(SKIP_1) | instid1(VALU_DEP_1)
	v_add_f16_e32 v60, v60, v65
	v_mul_f16_e64 v65, 0x39e9, v186
	v_fma_f16 v61, 0xb964, v141, v65
	v_fmac_f16_e64 v65, 0x3964, v141
	s_delay_alu instid0(VALU_DEP_2) | instskip(SKIP_2) | instid1(VALU_DEP_2)
	v_add_f16_e32 v57, v61, v57
	v_mul_f16_e64 v61, 0x3a62, v183
	v_mul_f16_e64 v183, 0xbbf7, v183
	v_fma_f16 v62, 0xb8d2, v138, v61
	v_fma_f16 v61, v138, 0xb8d2, -v61
	s_delay_alu instid0(VALU_DEP_2) | instskip(SKIP_2) | instid1(VALU_DEP_2)
	v_add_f16_e32 v60, v62, v60
	v_mul_f16_e64 v62, 0x3722, v153
	v_mul_f16_e64 v153, 0xb8d2, v158
	v_fma_f16 v158, 0x3b29, v127, v62
	s_delay_alu instid0(VALU_DEP_2) | instskip(SKIP_2) | instid1(VALU_DEP_4)
	v_fma_f16 v63, 0x3a62, v129, v153
	v_fmac_f16_e32 v62, 0xbb29, v127
	v_fmac_f16_e64 v153, 0xba62, v129
	v_add_f16_e64 v158, v114, v158
	s_delay_alu instid0(VALU_DEP_3) | instskip(NEXT) | instid1(VALU_DEP_2)
	v_add_f16_e32 v62, v114, v62
	v_add_f16_e64 v63, v63, v158
	v_mul_f16_e64 v158, 0xbbdd, v166
	s_delay_alu instid0(VALU_DEP_3) | instskip(NEXT) | instid1(VALU_DEP_2)
	v_add_f16_e64 v62, v153, v62
	v_fma_f16 v166, 0xb1e1, v131, v158
	v_fmac_f16_e64 v158, 0x31e1, v131
	s_delay_alu instid0(VALU_DEP_2) | instskip(SKIP_1) | instid1(VALU_DEP_3)
	v_add_f16_e64 v63, v166, v63
	v_mul_f16_e64 v166, 0xb461, v174
	v_add_f16_e64 v62, v158, v62
	s_delay_alu instid0(VALU_DEP_2) | instskip(SKIP_1) | instid1(VALU_DEP_2)
	v_fma_f16 v174, 0xbbb2, v133, v166
	v_fmac_f16_e64 v166, 0x3bb2, v133
	v_add_f16_e64 v63, v174, v63
	v_fma_f16 v174, 0xb8d2, v128, v155
	s_delay_alu instid0(VALU_DEP_3) | instskip(NEXT) | instid1(VALU_DEP_2)
	v_add_f16_e64 v62, v166, v62
	v_add_f16_e64 v174, v174, v188
	v_fma_f16 v188, 0xb964, v135, v178
	v_fmac_f16_e64 v178, 0x3964, v135
	s_delay_alu instid0(VALU_DEP_2) | instskip(SKIP_1) | instid1(VALU_DEP_3)
	v_add_f16_e64 v63, v188, v63
	v_fma_f16 v188, 0xbbdd, v130, v162
	v_add_f16_e64 v62, v178, v62
	s_delay_alu instid0(VALU_DEP_2) | instskip(SKIP_1) | instid1(VALU_DEP_1)
	v_add_f16_e64 v174, v188, v174
	v_mul_f16_e64 v188, 0x3964, v184
	v_fma_f16 v64, 0x39e9, v139, v188
	s_delay_alu instid0(VALU_DEP_1) | instskip(SKIP_1) | instid1(VALU_DEP_2)
	v_add_f16_e32 v60, v64, v60
	v_mul_f16_e64 v64, 0x3b76, v181
	v_pack_b32_f16 v57, v60, v57
	s_delay_alu instid0(VALU_DEP_2) | instskip(SKIP_1) | instid1(VALU_DEP_2)
	v_fma_f16 v181, 0x35c8, v137, v64
	v_fmac_f16_e64 v64, 0xb5c8, v137
	v_add_f16_e64 v63, v181, v63
	v_fma_f16 v181, 0xb461, v132, v167
	s_delay_alu instid0(VALU_DEP_3) | instskip(SKIP_1) | instid1(VALU_DEP_3)
	v_add_f16_e32 v62, v64, v62
	v_fma_f16 v64, v136, 0x3b76, -v177
	v_add_f16_e64 v174, v181, v174
	v_mul_f16_e64 v181, 0x2de8, v185
	s_delay_alu instid0(VALU_DEP_1) | instskip(SKIP_1) | instid1(VALU_DEP_2)
	v_fma_f16 v185, 0x3bf7, v140, v181
	v_fmac_f16_e64 v181, 0xbbf7, v140
	v_add_f16_e64 v63, v185, v63
	v_fma_f16 v185, 0x39e9, v134, v171
	s_delay_alu instid0(VALU_DEP_1) | instskip(SKIP_1) | instid1(VALU_DEP_1)
	v_add_f16_e64 v174, v185, v174
	v_mul_f16_e64 v185, 0xb964, v127
	v_sub_f16_e64 v150, v150, v185
	v_fma_f16 v185, 0x3b76, v136, v177
	s_delay_alu instid0(VALU_DEP_2) | instskip(NEXT) | instid1(VALU_DEP_2)
	v_add_f16_e64 v150, v114, v150
	v_add_f16_e64 v174, v185, v174
	v_mul_f16_e64 v185, 0xbbf7, v129
	s_delay_alu instid0(VALU_DEP_1) | instskip(SKIP_1) | instid1(VALU_DEP_2)
	v_sub_f16_e64 v156, v156, v185
	v_mul_f16_e64 v185, 0xbacd, v186
	v_add_f16_e64 v150, v156, v150
	v_mul_f16_e64 v156, 0xba62, v131
	s_delay_alu instid0(VALU_DEP_3) | instskip(SKIP_1) | instid1(VALU_DEP_3)
	v_fma_f16 v186, 0x3836, v141, v185
	v_fmac_f16_e64 v185, 0xb836, v141
	v_sub_f16_e64 v156, v161, v156
	v_mul_f16_e64 v161, 0x2de8, v128
	s_delay_alu instid0(VALU_DEP_4) | instskip(SKIP_1) | instid1(VALU_DEP_4)
	v_add_f16_e64 v63, v186, v63
	v_fma_f16 v186, 0x2de8, v138, v183
	v_add_f16_e64 v150, v156, v150
	v_mul_f16_e64 v156, 0xb1e1, v133
	v_add_f16_e64 v151, v161, v151
	v_mul_f16_e64 v161, 0xb8d2, v130
	v_add_f16_e64 v174, v186, v174
	s_delay_alu instid0(VALU_DEP_4) | instskip(NEXT) | instid1(VALU_DEP_4)
	v_sub_f16_e64 v156, v159, v156
	v_add_f16_e64 v151, v151, v189
	s_wait_loadcnt 0x0
	v_add_f16_e32 v45, v109, v37
	scratch_load_b32 v37, off, off offset:20 th:TH_LOAD_LU ; 4-byte Folded Reload
	v_add_f16_e64 v159, v161, v142
	v_add_f16_e64 v150, v156, v150
	v_mul_f16_e64 v156, 0x3836, v135
	v_fma_f16 v109, v132, 0xb8d2, -v211
	v_mul_f16_e64 v161, 0xb836, v184
	v_add_f16_e64 v151, v159, v151
	v_mul_f16_e64 v159, 0xbbdd, v132
	v_sub_f16_e64 v156, v152, v156
	v_add_f16_e32 v44, v109, v44
	v_fma_f16 v109, v130, 0x3b76, -v224
	v_mov_b32_e32 v211, v85
	v_add_f16_e64 v159, v159, v145
	v_add_f16_e64 v150, v156, v150
	v_mul_f16_e64 v156, 0x3bb2, v137
	v_add_f16_e32 v45, v109, v45
	v_fma_f16 v109, v134, 0x3b76, -v213
	v_add_f16_e64 v151, v159, v151
	v_mul_f16_e64 v159, 0xbacd, v134
	v_sub_f16_e64 v156, v164, v156
	v_fma_f16 v164, 0xbacd, v139, v161
	v_add_f16_e32 v44, v109, v44
	v_fma_f16 v109, v132, 0xbacd, -v227
	v_add_f16_e64 v159, v159, v148
	v_add_f16_e64 v150, v156, v150
	v_mul_f16_e64 v156, 0xb461, v136
	v_add_f16_e64 v164, v164, v174
	v_mov_b32_e32 v85, v98
	v_add_f16_e64 v151, v159, v151
	v_mul_f16_e64 v159, 0x3b29, v140
	v_add_f16_e64 v156, v156, v149
	v_mov_b32_e32 v213, v93
	v_add_f16_e32 v45, v109, v45
	v_fma_f16 v109, v136, 0xbbdd, -v214
	v_sub_f16_e64 v159, v157, v159
	v_add_f16_e64 v151, v156, v151
	v_mul_f16_e64 v156, 0x3722, v138
	v_mov_b32_e32 v214, v89
	v_pack_b32_f16 v63, v164, v63
	v_add_f16_e64 v150, v159, v150
	v_add_f16_e32 v44, v109, v44
	v_add_f16_e64 v156, v156, v154
	v_fma_f16 v109, v134, 0x2de8, -v229
	v_mov_b32_e32 v98, v91
	v_add_f16_e64 v117, v120, v150
	v_lshrrev_b32_e32 v91, 16, v21
	v_add_f16_e64 v151, v156, v151
	v_mul_f16_e64 v156, 0x3b76, v139
	v_add_f16_e32 v45, v109, v45
	v_fma_f16 v109, v138, 0x39e9, -v216
	v_lshrrev_b32_e32 v216, 16, v30
	v_lshrrev_b32_e32 v93, 16, v18
	v_add_f16_e64 v156, v156, v160
	s_delay_alu instid0(VALU_DEP_4) | instskip(SKIP_1) | instid1(VALU_DEP_3)
	v_add_f16_e32 v44, v109, v44
	v_fma_f16 v109, v136, 0x39e9, -v230
	v_add_f16_e64 v111, v156, v151
	s_delay_alu instid0(VALU_DEP_2) | instskip(SKIP_1) | instid1(VALU_DEP_1)
	v_add_f16_e32 v45, v109, v45
	v_fma_f16 v109, v139, 0xb461, -v226
	v_add_f16_e32 v44, v109, v44
	v_fma_f16 v109, v138, 0xbbdd, -v232
	s_delay_alu instid0(VALU_DEP_1) | instskip(SKIP_1) | instid1(VALU_DEP_1)
	v_add_f16_e32 v45, v109, v45
	v_fma_f16 v109, v139, 0x3722, -v242
	v_add_f16_e32 v45, v109, v45
	v_add_f16_e64 v109, v114, v233
	s_delay_alu instid0(VALU_DEP_1) | instskip(NEXT) | instid1(VALU_DEP_1)
	v_add_f16_e64 v109, v235, v109
	v_add_f16_e64 v109, v236, v109
	s_delay_alu instid0(VALU_DEP_1) | instskip(NEXT) | instid1(VALU_DEP_1)
	v_add_f16_e64 v109, v237, v109
	v_add_f16_e64 v109, v239, v109
	s_delay_alu instid0(VALU_DEP_1) | instskip(NEXT) | instid1(VALU_DEP_1)
	v_add_f16_e64 v109, v241, v109
	v_add_f16_e64 v109, v244, v109
	s_delay_alu instid0(VALU_DEP_1) | instskip(SKIP_4) | instid1(VALU_DEP_1)
	v_add_f16_e64 v109, v247, v109
	s_wait_loadcnt 0x0
	v_add_f16_e32 v46, v110, v37
	scratch_load_b32 v37, off, off offset:8 th:TH_LOAD_LU ; 4-byte Folded Reload
	v_fma_f16 v110, v130, 0x39e9, -v240
	v_add_f16_e32 v46, v110, v46
	v_add_f16_e64 v110, v114, v249
	s_delay_alu instid0(VALU_DEP_2) | instskip(NEXT) | instid1(VALU_DEP_2)
	v_add_f16_e32 v46, v113, v46
	v_add_f16_e64 v110, v251, v110
	v_fma_f16 v113, v134, 0xbbdd, -v245
	s_delay_alu instid0(VALU_DEP_2) | instskip(NEXT) | instid1(VALU_DEP_2)
	v_add_f16_e64 v110, v252, v110
	v_add_f16_e32 v46, v113, v46
	v_fma_f16 v113, v136, 0x2de8, -v246
	s_delay_alu instid0(VALU_DEP_3) | instskip(NEXT) | instid1(VALU_DEP_2)
	v_add_f16_e64 v110, v253, v110
	v_add_f16_e32 v46, v113, v46
	v_fma_f16 v113, v138, 0x3b76, -v248
	s_delay_alu instid0(VALU_DEP_3) | instskip(NEXT) | instid1(VALU_DEP_2)
	v_add_f16_e64 v110, v255, v110
	v_add_f16_e32 v46, v113, v46
	s_delay_alu instid0(VALU_DEP_2) | instskip(NEXT) | instid1(VALU_DEP_2)
	v_add_f16_e64 v110, v187, v110
	v_add_f16_e32 v46, v69, v46
	s_delay_alu instid0(VALU_DEP_2) | instskip(SKIP_2) | instid1(VALU_DEP_3)
	v_add_f16_e32 v69, v71, v110
	v_fma_f16 v71, v128, 0xbbdd, -v254
	v_fma_f16 v110, v130, 0xb461, -v250
	v_add_f16_e32 v65, v65, v69
	v_dual_mov_b32 v68, v82 :: v_dual_and_b32 v69, 0xffff, v68
	v_mov_b32_e32 v82, v84
	v_mov_b32_e32 v84, v96
	v_dual_mov_b32 v96, v75 :: v_dual_mov_b32 v75, v51
	s_wait_loadcnt 0x0
	v_add_f16_e32 v40, v71, v37
	scratch_load_b32 v37, off, off offset:4 th:TH_LOAD_LU ; 4-byte Folded Reload
	v_fma_f16 v71, v128, 0xb8d2, -v155
	v_add_f16_e32 v40, v110, v40
	s_delay_alu instid0(VALU_DEP_1)
	v_add_f16_e32 v40, v70, v40
	v_fma_f16 v70, v132, 0xb461, -v167
	s_wait_loadcnt 0x0
	v_add_f16_e32 v39, v71, v37
	scratch_load_b32 v37, off, off offset:16 th:TH_LOAD_LU ; 4-byte Folded Reload
	v_fma_f16 v71, v130, 0xbbdd, -v162
	s_delay_alu instid0(VALU_DEP_1) | instskip(SKIP_1) | instid1(VALU_DEP_2)
	v_add_f16_e32 v39, v71, v39
	v_fma_f16 v71, v134, 0x3722, -v76
	v_add_f16_e32 v39, v70, v39
	v_fma_f16 v70, v134, 0x39e9, -v171
	s_delay_alu instid0(VALU_DEP_3) | instskip(SKIP_1) | instid1(VALU_DEP_3)
	v_add_f16_e32 v40, v71, v40
	v_fma_f16 v71, v136, 0xbacd, -v78
	v_add_f16_e32 v39, v70, v39
	s_delay_alu instid0(VALU_DEP_2) | instskip(NEXT) | instid1(VALU_DEP_2)
	v_add_f16_e32 v40, v71, v40
	v_add_f16_e32 v39, v64, v39
	v_fma_f16 v64, v138, 0x2de8, -v183
	s_delay_alu instid0(VALU_DEP_3) | instskip(SKIP_2) | instid1(VALU_DEP_4)
	v_add_f16_e32 v40, v61, v40
	v_add_f16_e64 v61, v181, v62
	v_fma_f16 v62, v139, 0x39e9, -v188
	v_add_f16_e32 v39, v64, v39
	s_delay_alu instid0(VALU_DEP_3) | instskip(NEXT) | instid1(VALU_DEP_3)
	v_add_f16_e64 v61, v185, v61
	v_add_f16_e32 v40, v62, v40
	v_fma_f16 v62, v139, 0xbacd, -v161
	s_delay_alu instid0(VALU_DEP_2) | instskip(NEXT) | instid1(VALU_DEP_2)
	v_pack_b32_f16 v40, v40, v65
	v_add_f16_e32 v39, v62, v39
	s_delay_alu instid0(VALU_DEP_1)
	v_pack_b32_f16 v39, v39, v61
	s_wait_loadcnt 0x0
	v_pack_b32_f16 v51, v106, v37
	v_dual_mov_b32 v106, v202 :: v_dual_mov_b32 v89, v182
	v_lshlrev_b32_e32 v64, 2, v69
	v_pack_b32_f16 v69, v111, v117
	ds_store_2addr_b32 v64, v41, v42 offset1:1
	ds_store_2addr_b32 v64, v69, v63 offset0:2 offset1:3
	ds_store_2addr_b32 v64, v57, v54 offset0:4 offset1:5
	;; [unrolled: 1-line block ×3, first 2 shown]
	s_clause 0x1
	scratch_load_b32 v37, off, off th:TH_LOAD_LU
	scratch_load_b32 v38, off, off offset:12 th:TH_LOAD_LU
	v_pack_b32_f16 v41, v43, v48
	v_pack_b32_f16 v42, v44, v49
	v_pack_b32_f16 v43, v46, v109
	v_perm_b32 v44, v52, v115, 0x5040100
	s_wait_loadcnt 0x0
	v_pack_b32_f16 v37, v38, v37
	v_pack_b32_f16 v38, v45, v50
	v_perm_b32 v45, v47, v35, 0x5040100
	ds_store_2addr_b32 v64, v37, v41 offset0:8 offset1:9
	ds_store_2addr_b32 v64, v42, v38 offset0:10 offset1:11
	;; [unrolled: 1-line block ×4, first 2 shown]
	ds_store_b32 v64, v45 offset:64
.LBB0_17:
	s_wait_alu 0xfffe
	s_or_b32 exec_lo, exec_lo, s1
	v_add_nc_u32_e32 v37, 0x400, v58
	v_add_nc_u32_e32 v46, 0xe00, v58
	global_wb scope:SCOPE_SE
	s_wait_storecnt_dscnt 0x0
	s_barrier_signal -1
	s_barrier_wait -1
	global_inv scope:SCOPE_SE
	v_add_nc_u32_e32 v43, 0x800, v58
	ds_load_2addr_b32 v[37:38], v37 offset0:152 offset1:254
	ds_load_2addr_b32 v[41:42], v46 offset0:124 offset1:226
	v_add_nc_u32_e32 v57, 0x200, v58
	v_add_nc_u32_e32 v60, 0x1200, v58
	ds_load_2addr_b32 v[44:45], v43 offset0:100 offset1:202
	v_add_nc_u32_e32 v43, 0xc00, v58
	ds_load_2addr_b32 v[39:40], v58 offset1:102
	ds_load_2addr_b32 v[48:49], v57 offset0:76 offset1:178
	ds_load_2addr_b32 v[50:51], v60 offset0:72 offset1:174
	ds_load_2addr_b32 v[53:54], v43 offset0:48 offset1:150
	ds_load_b32 v61, v58 offset:5712
	global_wb scope:SCOPE_SE
	s_wait_dscnt 0x0
	s_barrier_signal -1
	s_barrier_wait -1
	global_inv scope:SCOPE_SE
	v_lshrrev_b32_e32 v64, 16, v38
	v_lshrrev_b32_e32 v65, 16, v41
	;; [unrolled: 1-line block ×5, first 2 shown]
	v_mul_f16_e32 v111, v84, v64
	v_mul_f16_e32 v84, v84, v38
	v_mul_f16_e64 v114, v219, v65
	v_lshrrev_b32_e32 v76, 16, v45
	v_lshrrev_b32_e32 v78, 16, v50
	v_fmac_f16_e32 v111, v33, v38
	v_mul_f16_e64 v38, v219, v41
	v_fma_f16 v33, v33, v64, -v84
	v_mul_f16_e64 v64, v220, v69
	v_fmac_f16_e32 v114, v34, v41
	v_mul_f16_e64 v41, v220, v44
	v_fma_f16 v34, v34, v65, -v38
	v_mul_f16_e64 v38, v217, v70
	;; [unrolled: 4-line block ×3, first 2 shown]
	v_lshrrev_b32_e32 v109, 16, v53
	v_fmac_f16_e32 v38, v32, v42
	v_mul_f16_e64 v42, v218, v45
	v_fma_f16 v32, v32, v70, -v44
	v_mul_f16_e64 v44, v216, v78
	v_lshrrev_b32_e32 v110, 16, v51
	v_fmac_f16_e32 v41, v29, v45
	v_mul_f16_e64 v45, v216, v50
	v_lshrrev_b32_e32 v112, 16, v54
	v_fma_f16 v29, v29, v76, -v42
	v_mul_f16_e64 v42, v214, v109
	v_fmac_f16_e32 v44, v30, v50
	v_mul_f16_e64 v50, v214, v53
	v_fma_f16 v30, v30, v78, -v45
	v_mul_f16_e64 v45, v212, v110
	v_lshrrev_b32_e32 v113, 16, v61
	v_fmac_f16_e32 v42, v27, v53
	v_mul_f16_e64 v53, v212, v51
	v_fma_f16 v27, v27, v109, -v50
	v_mul_f16_e32 v50, v24, v112
	v_fmac_f16_e32 v45, v28, v51
	v_mul_f16_e32 v51, v24, v54
	v_fma_f16 v28, v28, v110, -v53
	v_mul_f16_e32 v53, v68, v113
	v_fmac_f16_e32 v50, v25, v54
	v_mul_f16_e32 v54, v68, v61
	v_lshrrev_b32_e32 v62, 16, v39
	v_fma_f16 v25, v25, v112, -v51
	v_add_f16_e32 v51, v111, v114
	v_fmac_f16_e32 v53, v26, v61
	v_fma_f16 v54, v26, v113, -v54
	v_add_f16_e32 v26, v33, v34
	v_add_f16_e32 v61, v39, v111
	v_fma_f16 v39, -0.5, v51, v39
	v_sub_f16_e32 v51, v33, v34
	v_add_f16_e32 v33, v62, v33
	v_fmac_f16_e32 v62, -0.5, v26
	v_sub_f16_e32 v26, v111, v114
	v_lshrrev_b32_e32 v63, 16, v40
	v_fmamk_f16 v65, v51, 0xbaee, v39
	v_add_f16_e32 v33, v33, v34
	v_add_f16_e32 v34, v64, v38
	v_fmac_f16_e32 v39, 0x3aee, v51
	v_fmamk_f16 v51, v26, 0x3aee, v62
	v_fmac_f16_e32 v62, 0xbaee, v26
	v_add_f16_e32 v26, v31, v32
	v_add_f16_e32 v68, v40, v64
	v_fmac_f16_e32 v40, -0.5, v34
	v_sub_f16_e32 v34, v31, v32
	v_add_f16_e32 v31, v63, v31
	v_fmac_f16_e32 v63, -0.5, v26
	v_sub_f16_e32 v26, v64, v38
	v_lshrrev_b32_e32 v71, 16, v48
	v_add_f16_e32 v68, v68, v38
	v_add_f16_e32 v31, v31, v32
	;; [unrolled: 1-line block ×3, first 2 shown]
	v_fmamk_f16 v38, v34, 0xbaee, v40
	v_fmac_f16_e32 v40, 0x3aee, v34
	v_fmamk_f16 v34, v26, 0x3aee, v63
	v_fmac_f16_e32 v63, 0xbaee, v26
	v_add_f16_e32 v26, v29, v30
	v_add_f16_e32 v64, v48, v41
	v_fma_f16 v32, -0.5, v32, v48
	v_sub_f16_e32 v48, v29, v30
	v_add_f16_e32 v29, v71, v29
	v_fmac_f16_e32 v71, -0.5, v26
	v_sub_f16_e32 v26, v41, v44
	v_lshrrev_b32_e32 v108, 16, v49
	v_fmamk_f16 v41, v48, 0xbaee, v32
	v_add_f16_e32 v29, v29, v30
	v_add_f16_e32 v30, v42, v45
	v_fmac_f16_e32 v32, 0x3aee, v48
	v_fmamk_f16 v48, v26, 0x3aee, v71
	v_fmac_f16_e32 v71, 0xbaee, v26
	v_add_f16_e32 v26, v27, v28
	v_add_f16_e32 v64, v64, v44
	;; [unrolled: 1-line block ×3, first 2 shown]
	v_fmac_f16_e32 v49, -0.5, v30
	v_sub_f16_e32 v30, v27, v28
	v_add_f16_e32 v27, v108, v27
	v_fmac_f16_e32 v108, -0.5, v26
	v_sub_f16_e32 v26, v42, v45
	v_add_f16_e32 v61, v61, v114
	v_fmamk_f16 v42, v30, 0xbaee, v49
	v_add_f16_e32 v27, v27, v28
	v_add_f16_e32 v28, v50, v53
	v_fmac_f16_e32 v49, 0x3aee, v30
	v_fmamk_f16 v30, v26, 0x3aee, v108
	v_fmac_f16_e32 v108, 0xbaee, v26
	v_add_f16_e32 v26, v25, v54
	v_add_f16_e32 v69, v44, v45
	;; [unrolled: 1-line block ×3, first 2 shown]
	v_fmac_f16_e32 v37, -0.5, v28
	v_sub_f16_e32 v28, v25, v54
	v_add_f16_e32 v45, v43, v25
	v_fmac_f16_e32 v43, -0.5, v26
	v_sub_f16_e32 v50, v50, v53
	v_pack_b32_f16 v39, v39, v62
	v_fmamk_f16 v26, v28, 0xbaee, v37
	v_fmac_f16_e32 v37, 0x3aee, v28
	v_pack_b32_f16 v28, v61, v33
	v_pack_b32_f16 v33, v65, v51
	;; [unrolled: 1-line block ×4, first 2 shown]
	v_add_f16_e32 v25, v44, v53
	v_add_f16_e32 v44, v45, v54
	v_fmamk_f16 v45, v50, 0x3aee, v43
	v_pack_b32_f16 v38, v40, v63
	v_fmac_f16_e32 v43, 0xbaee, v50
	v_pack_b32_f16 v29, v64, v29
	v_pack_b32_f16 v40, v41, v48
	ds_store_2addr_b32 v210, v28, v33 offset1:17
	ds_store_b32 v210, v39 offset:136
	ds_store_2addr_b32 v79, v31, v34 offset1:17
	ds_store_b32 v79, v38 offset:136
	ds_store_2addr_b32 v77, v29, v40 offset1:17
	v_pack_b32_f16 v28, v32, v71
	v_pack_b32_f16 v27, v69, v27
	v_pack_b32_f16 v29, v42, v30
	v_pack_b32_f16 v30, v49, v108
	v_pack_b32_f16 v31, v25, v44
	v_pack_b32_f16 v32, v26, v45
	v_pack_b32_f16 v33, v37, v43
	ds_store_b32 v77, v28 offset:136
	ds_store_2addr_b32 v74, v27, v29 offset1:17
	ds_store_b32 v74, v30 offset:136
	ds_store_2addr_b32 v73, v31, v32 offset1:17
	ds_store_b32 v73, v33 offset:136
	v_add_nc_u32_e32 v29, 0x600, v58
	v_add_nc_u32_e32 v30, 0xa00, v58
	global_wb scope:SCOPE_SE
	s_wait_dscnt 0x0
	s_barrier_signal -1
	s_barrier_wait -1
	global_inv scope:SCOPE_SE
	ds_load_2addr_b32 v[27:28], v58 offset1:102
	ds_load_2addr_b32 v[41:42], v57 offset0:127 offset1:229
	ds_load_2addr_b32 v[39:40], v29 offset0:126 offset1:228
	;; [unrolled: 1-line block ×5, first 2 shown]
	s_and_saveexec_b32 s1, s0
	s_cbranch_execz .LBB0_19
; %bb.18:
	v_add_nc_u32_e32 v25, 0x330, v58
	v_add_nc_u32_e32 v35, 0xb28, v58
	;; [unrolled: 1-line block ×3, first 2 shown]
	ds_load_2addr_b32 v[25:26], v25 offset1:255
	ds_load_2addr_b32 v[37:38], v35 offset1:255
	;; [unrolled: 1-line block ×3, first 2 shown]
	s_wait_dscnt 0x2
	v_lshrrev_b32_e32 v44, 16, v25
	s_wait_dscnt 0x1
	v_mov_b32_e32 v115, v38
	v_lshrrev_b32_e32 v45, 16, v26
	v_lshrrev_b32_e32 v43, 16, v37
	;; [unrolled: 1-line block ×3, first 2 shown]
	s_wait_dscnt 0x0
	v_lshrrev_b32_e32 v47, 16, v35
	v_lshrrev_b32_e32 v97, 16, v36
.LBB0_19:
	s_wait_alu 0xfffe
	s_or_b32 exec_lo, exec_lo, s1
	s_wait_dscnt 0x4
	v_lshrrev_b32_e32 v46, 16, v41
	s_wait_dscnt 0x3
	v_lshrrev_b32_e32 v48, 16, v39
	;; [unrolled: 2-line block ×3, first 2 shown]
	v_mul_f16_e32 v63, v107, v41
	s_wait_dscnt 0x1
	v_lshrrev_b32_e32 v50, 16, v31
	v_mul_f16_e32 v61, v107, v46
	v_mul_f16_e32 v65, v106, v48
	s_wait_dscnt 0x0
	v_lshrrev_b32_e32 v51, 16, v29
	v_lshrrev_b32_e32 v54, 16, v42
	;; [unrolled: 1-line block ×3, first 2 shown]
	v_fmac_f16_e32 v61, v8, v41
	v_mul_f16_e32 v41, v106, v39
	v_fma_f16 v8, v8, v46, -v63
	v_mul_f16_e32 v46, v104, v49
	v_fmac_f16_e32 v65, v9, v39
	v_mul_f16_e32 v39, v104, v33
	v_fma_f16 v9, v9, v48, -v41
	v_mul_f16_e32 v41, v102, v50
	;; [unrolled: 4-line block ×3, first 2 shown]
	v_lshrrev_b32_e32 v60, 16, v34
	v_fmac_f16_e32 v41, v11, v31
	v_mul_f16_e32 v31, v100, v29
	v_fma_f16 v11, v11, v50, -v33
	v_mul_f16_e32 v33, v105, v54
	v_fmac_f16_e32 v39, v67, v29
	v_mul_f16_e32 v29, v105, v42
	v_lshrrev_b32_e32 v62, 16, v32
	v_mul_f16_e32 v48, v103, v57
	v_fmac_f16_e32 v33, v4, v42
	v_mul_f16_e32 v42, v103, v40
	v_fma_f16 v4, v4, v54, -v29
	v_mul_f16_e32 v29, v101, v60
	v_lshrrev_b32_e32 v64, 16, v30
	v_fmac_f16_e32 v48, v5, v40
	v_mul_f16_e32 v40, v101, v34
	v_fma_f16 v5, v5, v57, -v42
	v_mul_f16_e32 v42, v99, v62
	v_fmac_f16_e32 v29, v6, v34
	v_mul_f16_e32 v34, v99, v32
	v_fma_f16 v6, v6, v60, -v40
	v_mul_f16_e32 v40, v98, v64
	v_fmac_f16_e32 v42, v7, v32
	v_lshrrev_b32_e32 v38, 16, v27
	v_fma_f16 v7, v7, v62, -v34
	v_add_f16_e32 v34, v65, v41
	v_fma_f16 v31, v67, v51, -v31
	v_mul_f16_e32 v32, v98, v30
	v_fmac_f16_e32 v40, v66, v30
	v_add_f16_e32 v30, v27, v65
	v_add_f16_e32 v49, v9, v11
	v_fma_f16 v27, -0.5, v34, v27
	v_sub_f16_e32 v34, v9, v11
	v_add_f16_e32 v9, v38, v9
	v_add_f16_e32 v30, v30, v41
	v_fmac_f16_e32 v38, -0.5, v49
	v_sub_f16_e32 v41, v65, v41
	v_fmamk_f16 v49, v34, 0xbaee, v27
	v_fmac_f16_e32 v27, 0x3aee, v34
	v_add_f16_e32 v34, v10, v31
	v_add_f16_e32 v50, v46, v39
	;; [unrolled: 1-line block ×4, first 2 shown]
	v_fmamk_f16 v11, v41, 0x3aee, v38
	v_fmac_f16_e32 v8, -0.5, v34
	v_sub_f16_e32 v34, v46, v39
	v_add_f16_e32 v46, v61, v46
	v_fmac_f16_e32 v61, -0.5, v50
	v_sub_f16_e32 v10, v10, v31
	v_fmac_f16_e32 v38, 0xbaee, v41
	v_fmamk_f16 v41, v34, 0x3aee, v8
	v_fmac_f16_e32 v8, 0xbaee, v34
	v_add_f16_e32 v31, v51, v31
	v_add_f16_e32 v34, v46, v39
	v_fmamk_f16 v39, v10, 0xbaee, v61
	v_fmac_f16_e32 v61, 0x3aee, v10
	v_mul_f16_e32 v10, 0xbaee, v41
	v_mul_f16_e32 v46, 0xbaee, v8
	v_mul_f16_e32 v41, 0.5, v41
	v_mul_f16_e32 v8, -0.5, v8
	v_add_f16_e32 v54, v9, v31
	v_sub_f16_e32 v9, v9, v31
	v_add_f16_e32 v31, v48, v42
	v_lshrrev_b32_e32 v53, 16, v28
	v_fma_f16 v32, v66, v64, -v32
	v_add_f16_e32 v50, v30, v34
	v_fmac_f16_e32 v41, 0x3aee, v39
	v_fmac_f16_e32 v8, 0x3aee, v61
	v_sub_f16_e32 v30, v30, v34
	v_add_f16_e32 v34, v28, v48
	v_fmac_f16_e32 v28, -0.5, v31
	v_sub_f16_e32 v31, v5, v7
	v_fmac_f16_e32 v46, -0.5, v61
	v_add_f16_e32 v57, v11, v41
	v_add_f16_e32 v60, v38, v8
	v_sub_f16_e32 v11, v11, v41
	v_sub_f16_e32 v8, v38, v8
	v_add_f16_e32 v38, v5, v7
	v_fmamk_f16 v41, v31, 0xbaee, v28
	v_fmac_f16_e32 v28, 0x3aee, v31
	v_add_f16_e32 v31, v6, v32
	v_add_f16_e32 v51, v27, v46
	v_sub_f16_e32 v27, v27, v46
	v_add_f16_e32 v34, v34, v42
	v_add_f16_e32 v5, v53, v5
	v_fmac_f16_e32 v53, -0.5, v38
	v_sub_f16_e32 v38, v48, v42
	v_add_f16_e32 v42, v29, v40
	v_add_f16_e32 v46, v4, v6
	v_fmac_f16_e32 v4, -0.5, v31
	v_sub_f16_e32 v31, v29, v40
	v_add_f16_e32 v5, v5, v7
	v_fmamk_f16 v7, v38, 0x3aee, v53
	v_add_f16_e32 v29, v33, v29
	v_fmac_f16_e32 v33, -0.5, v42
	v_sub_f16_e32 v6, v6, v32
	v_fmac_f16_e32 v53, 0xbaee, v38
	v_fmamk_f16 v38, v31, 0x3aee, v4
	v_fmac_f16_e32 v4, 0xbaee, v31
	v_fmac_f16_e32 v10, 0.5, v39
	v_fmamk_f16 v31, v6, 0xbaee, v33
	v_fmac_f16_e32 v33, 0x3aee, v6
	v_mul_f16_e32 v6, 0xbaee, v38
	v_mul_f16_e32 v38, 0.5, v38
	v_add_f16_e32 v29, v29, v40
	v_mul_f16_e32 v40, 0xbaee, v4
	v_mul_f16_e32 v4, -0.5, v4
	v_add_f16_e32 v39, v49, v10
	v_add_f16_e32 v32, v46, v32
	v_fmac_f16_e32 v6, 0.5, v31
	v_fmac_f16_e32 v38, 0x3aee, v31
	v_fmac_f16_e32 v40, -0.5, v33
	v_fmac_f16_e32 v4, 0x3aee, v33
	v_add_f16_e32 v42, v34, v29
	v_add_f16_e32 v46, v5, v32
	v_sub_f16_e32 v29, v34, v29
	v_sub_f16_e32 v5, v5, v32
	v_pack_b32_f16 v32, v50, v54
	v_pack_b32_f16 v34, v39, v57
	v_sub_f16_e32 v10, v49, v10
	v_add_f16_e32 v31, v41, v6
	v_add_f16_e32 v48, v7, v38
	;; [unrolled: 1-line block ×4, first 2 shown]
	v_sub_f16_e32 v6, v41, v6
	v_sub_f16_e32 v28, v28, v40
	;; [unrolled: 1-line block ×4, first 2 shown]
	global_wb scope:SCOPE_SE
	s_barrier_signal -1
	s_barrier_wait -1
	global_inv scope:SCOPE_SE
	ds_store_2addr_b32 v72, v32, v34 offset1:51
	v_pack_b32_f16 v32, v51, v60
	v_pack_b32_f16 v9, v30, v9
	;; [unrolled: 1-line block ×10, first 2 shown]
	ds_store_2addr_b32 v72, v32, v9 offset0:102 offset1:153
	ds_store_2addr_b32 v72, v10, v8 offset0:204 offset1:255
	ds_store_2addr_b32 v75, v11, v27 offset1:51
	ds_store_2addr_b32 v75, v30, v5 offset0:102 offset1:153
	ds_store_2addr_b32 v75, v6, v4 offset0:204 offset1:255
	s_and_saveexec_b32 s1, s0
	s_cbranch_execz .LBB0_21
; %bb.20:
	v_mul_f16_e32 v4, v81, v37
	v_mul_f16_e32 v5, v82, v35
	v_mul_f16_e64 v7, v215, v115
	v_mul_f16_e64 v8, v213, v36
	;; [unrolled: 1-line block ×3, first 2 shown]
	v_fma_f16 v4, v1, v43, -v4
	v_fma_f16 v5, v3, v47, -v5
	v_mul_f16_e64 v9, v213, v97
	v_mul_f16_e32 v10, v83, v26
	v_fma_f16 v7, v2, v52, -v7
	v_fma_f16 v8, v59, v97, -v8
	v_mul_f16_e32 v28, v81, v43
	v_mul_f16_e32 v29, v82, v47
	v_add_f16_e32 v11, v4, v5
	v_mul_f16_e32 v27, v83, v45
	v_fmac_f16_e32 v6, v2, v115
	v_fmac_f16_e32 v9, v59, v36
	v_fma_f16 v2, v0, v45, -v10
	v_add_f16_e32 v10, v7, v8
	v_fmac_f16_e32 v28, v1, v37
	v_fmac_f16_e32 v29, v3, v35
	;; [unrolled: 1-line block ×3, first 2 shown]
	v_add_f16_e32 v0, v6, v9
	v_fma_f16 v10, -0.5, v10, v2
	v_sub_f16_e32 v26, v6, v9
	v_fma_f16 v11, -0.5, v11, v44
	v_sub_f16_e32 v30, v28, v29
	v_add_f16_e32 v34, v28, v29
	v_fma_f16 v0, -0.5, v0, v27
	v_sub_f16_e32 v1, v7, v8
	v_fmamk_f16 v3, v26, 0xbaee, v10
	v_fmac_f16_e32 v10, 0x3aee, v26
	v_fmamk_f16 v26, v30, 0xbaee, v11
	v_fmac_f16_e32 v11, 0x3aee, v30
	v_add_f16_e32 v30, v44, v4
	v_add_f16_e32 v2, v2, v7
	v_fma_f16 v7, -0.5, v34, v25
	v_sub_f16_e32 v4, v4, v5
	v_fmamk_f16 v31, v1, 0x3aee, v0
	v_fmac_f16_e32 v0, 0xbaee, v1
	v_mul_f16_e32 v1, 0.5, v10
	v_add_f16_e32 v2, v2, v8
	v_fmamk_f16 v8, v4, 0x3aee, v7
	v_mul_f16_e32 v10, 0xbaee, v10
	v_fmac_f16_e32 v7, 0xbaee, v4
	v_add_f16_e32 v4, v25, v28
	v_add_f16_e32 v6, v27, v6
	v_mul_f16_e32 v32, -0.5, v3
	v_mul_f16_e32 v3, 0xbaee, v3
	v_fmac_f16_e32 v1, 0x3aee, v0
	v_add_f16_e32 v5, v30, v5
	v_fmac_f16_e32 v10, 0.5, v0
	v_add_f16_e32 v4, v4, v29
	v_add_f16_e32 v6, v6, v9
	v_fmac_f16_e32 v32, 0x3aee, v31
	v_fmac_f16_e32 v3, -0.5, v31
	v_sub_f16_e32 v34, v11, v1
	v_sub_f16_e32 v0, v5, v2
	;; [unrolled: 1-line block ×3, first 2 shown]
	v_add_f16_e32 v1, v11, v1
	v_add_f16_e32 v2, v5, v2
	;; [unrolled: 1-line block ×4, first 2 shown]
	v_lshlrev_b32_e32 v10, 2, v80
	v_sub_f16_e32 v33, v26, v32
	v_sub_f16_e32 v25, v8, v3
	v_add_f16_e32 v26, v26, v32
	v_add_f16_e32 v3, v8, v3
	v_sub_f16_e32 v4, v4, v6
	v_pack_b32_f16 v2, v5, v2
	v_pack_b32_f16 v1, v7, v1
	v_add_nc_u32_e32 v5, 0x1000, v10
	v_pack_b32_f16 v3, v3, v26
	v_pack_b32_f16 v0, v4, v0
	v_add_nc_u32_e32 v4, 0x1400, v10
	v_pack_b32_f16 v6, v9, v34
	v_pack_b32_f16 v7, v25, v33
	ds_store_2addr_b32 v5, v2, v1 offset0:200 offset1:251
	ds_store_2addr_b32 v4, v3, v0 offset0:46 offset1:97
	;; [unrolled: 1-line block ×3, first 2 shown]
.LBB0_21:
	s_wait_alu 0xfffe
	s_or_b32 exec_lo, exec_lo, s1
	v_add_nc_u32_e32 v27, 0x200, v58
	v_add_nc_u32_e32 v28, 0x800, v58
	;; [unrolled: 1-line block ×3, first 2 shown]
	global_wb scope:SCOPE_SE
	s_wait_dscnt 0x0
	s_barrier_signal -1
	s_barrier_wait -1
	global_inv scope:SCOPE_SE
	ds_load_2addr_b32 v[2:3], v27 offset0:76 offset1:178
	v_add_nc_u32_e32 v30, 0x1200, v58
	ds_load_2addr_b32 v[4:5], v28 offset0:100 offset1:202
	v_add_nc_u32_e32 v31, 0x400, v58
	v_add_nc_u32_e32 v32, 0xe00, v58
	ds_load_2addr_b32 v[0:1], v58 offset1:102
	ds_load_2addr_b32 v[6:7], v29 offset0:48 offset1:150
	ds_load_2addr_b32 v[8:9], v30 offset0:72 offset1:174
	;; [unrolled: 1-line block ×4, first 2 shown]
	ds_load_b32 v33, v58 offset:5712
	s_wait_dscnt 0x7
	v_lshrrev_b32_e32 v36, 16, v3
	v_mul_f16_e32 v50, v96, v3
	s_wait_dscnt 0x6
	v_lshrrev_b32_e32 v37, 16, v4
	s_wait_dscnt 0x4
	v_lshrrev_b32_e32 v38, 16, v7
	;; [unrolled: 2-line block ×4, first 2 shown]
	v_mul_f16_e32 v49, v96, v36
	v_mul_f16_e32 v51, v95, v37
	;; [unrolled: 1-line block ×4, first 2 shown]
	v_lshrrev_b32_e32 v41, 16, v5
	v_fmac_f16_e32 v49, v16, v3
	v_fma_f16 v3, v16, v36, -v50
	v_fmac_f16_e32 v51, v17, v4
	v_fma_f16 v4, v17, v37, -v52
	v_fmac_f16_e32 v53, v18, v7
	v_mul_f16_e32 v7, v93, v7
	v_mul_f16_e32 v16, v92, v39
	;; [unrolled: 1-line block ×5, first 2 shown]
	s_wait_dscnt 0x1
	v_lshrrev_b32_e32 v42, 16, v25
	v_lshrrev_b32_e32 v45, 16, v11
	v_fma_f16 v7, v18, v38, -v7
	v_fmac_f16_e32 v16, v19, v8
	v_fma_f16 v8, v19, v39, -v17
	v_fmac_f16_e32 v36, v20, v10
	v_fma_f16 v10, v20, v40, -v37
	v_mul_f16_e32 v17, v91, v41
	v_mul_f16_e32 v18, v91, v5
	;; [unrolled: 1-line block ×3, first 2 shown]
	v_lshrrev_b32_e32 v43, 16, v9
	v_lshrrev_b32_e32 v46, 16, v6
	v_mul_f16_e32 v19, v90, v42
	v_fmac_f16_e32 v17, v21, v5
	v_fma_f16 v5, v21, v41, -v18
	v_fma_f16 v18, v22, v42, -v20
	v_mul_f16_e32 v20, v88, v45
	v_mul_f16_e32 v21, v88, v11
	v_lshrrev_b32_e32 v47, 16, v26
	v_mul_f16_e32 v37, v89, v43
	v_fmac_f16_e32 v19, v22, v25
	v_mul_f16_e32 v22, v87, v46
	v_mul_f16_e32 v25, v87, v6
	v_fmac_f16_e32 v20, v12, v11
	v_fma_f16 v11, v12, v45, -v21
	v_add_f16_e32 v12, v51, v53
	s_wait_dscnt 0x0
	v_lshrrev_b32_e32 v48, 16, v33
	v_fmac_f16_e32 v37, v23, v9
	v_mul_f16_e32 v9, v89, v9
	v_fmac_f16_e32 v22, v13, v6
	v_fma_f16 v6, v13, v46, -v25
	v_mul_f16_e32 v13, v86, v47
	v_mul_f16_e32 v21, v86, v26
	v_add_f16_e32 v25, v0, v49
	v_fma_f16 v12, -0.5, v12, v0
	v_sub_f16_e32 v38, v3, v8
	v_lshrrev_b32_e32 v34, 16, v0
	v_fma_f16 v9, v23, v43, -v9
	v_mul_f16_e32 v23, v85, v48
	v_fmac_f16_e32 v13, v14, v26
	v_fma_f16 v14, v14, v47, -v21
	v_add_f16_e32 v21, v25, v51
	v_fmamk_f16 v25, v38, 0xbb9c, v12
	v_sub_f16_e32 v26, v4, v7
	v_sub_f16_e32 v39, v49, v51
	;; [unrolled: 1-line block ×3, first 2 shown]
	v_add_f16_e32 v41, v49, v16
	v_fmac_f16_e32 v12, 0x3b9c, v38
	v_fmac_f16_e32 v23, v15, v33
	v_mul_f16_e32 v33, v85, v33
	v_add_f16_e32 v21, v21, v53
	v_fmac_f16_e32 v25, 0xb8b4, v26
	v_add_f16_e32 v39, v39, v40
	v_fma_f16 v0, -0.5, v41, v0
	v_sub_f16_e32 v40, v51, v49
	v_sub_f16_e32 v41, v53, v16
	v_fmac_f16_e32 v12, 0x38b4, v26
	v_add_f16_e32 v42, v34, v3
	v_add_f16_e32 v43, v4, v7
	v_fma_f16 v15, v15, v48, -v33
	v_add_f16_e32 v21, v21, v16
	v_fmac_f16_e32 v25, 0x34f2, v39
	v_fmamk_f16 v33, v26, 0x3b9c, v0
	v_add_f16_e32 v40, v40, v41
	v_fmac_f16_e32 v0, 0xbb9c, v26
	v_add_f16_e32 v26, v42, v4
	v_fma_f16 v41, -0.5, v43, v34
	v_sub_f16_e32 v16, v49, v16
	v_fmac_f16_e32 v12, 0x34f2, v39
	v_add_f16_e32 v39, v3, v8
	v_sub_f16_e32 v43, v3, v4
	v_sub_f16_e32 v3, v4, v3
	;; [unrolled: 1-line block ×3, first 2 shown]
	v_fmac_f16_e32 v33, 0xb8b4, v38
	v_fmac_f16_e32 v0, 0x38b4, v38
	v_add_f16_e32 v26, v26, v7
	v_fmamk_f16 v38, v16, 0x3b9c, v41
	v_sub_f16_e32 v42, v51, v53
	v_sub_f16_e32 v45, v8, v7
	v_fmac_f16_e32 v34, -0.5, v39
	v_fmac_f16_e32 v41, 0xbb9c, v16
	v_add_f16_e32 v7, v17, v19
	v_add_f16_e32 v3, v3, v4
	;; [unrolled: 1-line block ×3, first 2 shown]
	v_lshrrev_b32_e32 v35, 16, v1
	v_fmac_f16_e32 v33, 0x34f2, v40
	v_fmac_f16_e32 v0, 0x34f2, v40
	v_add_f16_e32 v26, v26, v8
	v_fmac_f16_e32 v38, 0x38b4, v42
	v_add_f16_e32 v39, v43, v45
	v_fmamk_f16 v40, v42, 0xbb9c, v34
	v_fmac_f16_e32 v41, 0xb8b4, v42
	v_fma_f16 v7, -0.5, v7, v1
	v_sub_f16_e32 v8, v10, v9
	v_fmac_f16_e32 v34, 0x3b9c, v42
	v_add_f16_e32 v4, v4, v17
	v_add_f16_e32 v46, v36, v37
	v_fmac_f16_e32 v38, 0x34f2, v39
	v_fmac_f16_e32 v40, 0x38b4, v16
	;; [unrolled: 1-line block ×3, first 2 shown]
	v_fmamk_f16 v39, v8, 0xbb9c, v7
	v_sub_f16_e32 v42, v5, v18
	v_sub_f16_e32 v43, v36, v17
	;; [unrolled: 1-line block ×3, first 2 shown]
	v_fmac_f16_e32 v34, 0xb8b4, v16
	v_add_f16_e32 v4, v4, v19
	v_fmac_f16_e32 v1, -0.5, v46
	v_fmac_f16_e32 v7, 0x3b9c, v8
	v_add_f16_e32 v46, v35, v10
	v_fmac_f16_e32 v40, 0x34f2, v3
	v_fmac_f16_e32 v39, 0xb8b4, v42
	v_add_f16_e32 v16, v43, v45
	v_fmac_f16_e32 v34, 0x34f2, v3
	v_add_f16_e32 v3, v4, v37
	v_fmamk_f16 v4, v42, 0x3b9c, v1
	v_sub_f16_e32 v43, v17, v36
	v_sub_f16_e32 v45, v19, v37
	v_fmac_f16_e32 v7, 0x38b4, v42
	v_add_f16_e32 v47, v5, v18
	v_fmac_f16_e32 v1, 0xbb9c, v42
	v_add_f16_e32 v42, v46, v5
	;; [unrolled: 2-line block ×3, first 2 shown]
	v_fma_f16 v45, -0.5, v47, v35
	v_sub_f16_e32 v36, v36, v37
	v_fmac_f16_e32 v1, 0x38b4, v8
	v_add_f16_e32 v8, v42, v18
	v_add_f16_e32 v37, v10, v9
	v_fmac_f16_e32 v39, 0x34f2, v16
	v_fmac_f16_e32 v7, 0x34f2, v16
	v_fmamk_f16 v16, v36, 0x3b9c, v45
	v_sub_f16_e32 v17, v17, v19
	v_sub_f16_e32 v19, v10, v5
	;; [unrolled: 1-line block ×3, first 2 shown]
	v_fmac_f16_e32 v35, -0.5, v37
	v_add_f16_e32 v8, v8, v9
	v_fmac_f16_e32 v45, 0xbb9c, v36
	v_sub_f16_e32 v5, v5, v10
	v_sub_f16_e32 v9, v18, v9
	v_add_f16_e32 v10, v22, v13
	v_fmac_f16_e32 v16, 0x38b4, v17
	v_add_f16_e32 v19, v19, v42
	v_fmamk_f16 v37, v17, 0xbb9c, v35
	v_fmac_f16_e32 v45, 0xb8b4, v17
	v_add_f16_e32 v5, v5, v9
	v_fmac_f16_e32 v35, 0x3b9c, v17
	v_add_f16_e32 v9, v2, v20
	v_fma_f16 v10, -0.5, v10, v2
	v_sub_f16_e32 v17, v11, v15
	v_fmac_f16_e32 v4, 0x34f2, v43
	v_fmac_f16_e32 v1, 0x34f2, v43
	;; [unrolled: 1-line block ×6, first 2 shown]
	v_add_f16_e32 v9, v9, v22
	v_fmamk_f16 v18, v17, 0xbb9c, v10
	v_sub_f16_e32 v19, v6, v14
	v_sub_f16_e32 v36, v20, v22
	;; [unrolled: 1-line block ×3, first 2 shown]
	v_fmac_f16_e32 v10, 0x3b9c, v17
	v_add_f16_e32 v43, v20, v23
	v_lshrrev_b32_e32 v44, 16, v2
	v_add_f16_e32 v9, v9, v13
	v_fmac_f16_e32 v18, 0xb8b4, v19
	v_add_f16_e32 v36, v36, v42
	v_fmac_f16_e32 v10, 0x38b4, v19
	v_fmac_f16_e32 v2, -0.5, v43
	v_sub_f16_e32 v42, v22, v20
	v_sub_f16_e32 v43, v13, v23
	v_fmac_f16_e32 v37, 0x34f2, v5
	v_fmac_f16_e32 v35, 0x34f2, v5
	v_add_f16_e32 v5, v9, v23
	v_fmac_f16_e32 v18, 0x34f2, v36
	v_fmac_f16_e32 v10, 0x34f2, v36
	v_fmamk_f16 v9, v19, 0x3b9c, v2
	v_add_f16_e32 v36, v6, v14
	v_fmac_f16_e32 v2, 0xbb9c, v19
	v_sub_f16_e32 v20, v20, v23
	v_add_f16_e32 v23, v42, v43
	v_add_f16_e32 v42, v11, v15
	;; [unrolled: 1-line block ×3, first 2 shown]
	v_fma_f16 v36, -0.5, v36, v44
	v_fmac_f16_e32 v9, 0xb8b4, v17
	v_fmac_f16_e32 v2, 0x38b4, v17
	v_sub_f16_e32 v13, v22, v13
	v_fmac_f16_e32 v44, -0.5, v42
	v_add_f16_e32 v17, v19, v6
	v_fmamk_f16 v19, v20, 0x3b9c, v36
	v_fmac_f16_e32 v9, 0x34f2, v23
	v_fmac_f16_e32 v2, 0x34f2, v23
	v_sub_f16_e32 v22, v11, v6
	v_sub_f16_e32 v23, v15, v14
	v_fmac_f16_e32 v36, 0xbb9c, v20
	v_fmamk_f16 v42, v13, 0xbb9c, v44
	v_sub_f16_e32 v6, v6, v11
	v_sub_f16_e32 v11, v14, v15
	v_fmac_f16_e32 v44, 0x3b9c, v13
	v_add_f16_e32 v17, v17, v14
	v_fmac_f16_e32 v19, 0x38b4, v13
	v_add_f16_e32 v14, v22, v23
	v_fmac_f16_e32 v36, 0xb8b4, v13
	v_fmac_f16_e32 v42, 0x38b4, v20
	v_add_f16_e32 v6, v6, v11
	v_fmac_f16_e32 v44, 0xb8b4, v20
	v_add_f16_e32 v11, v17, v15
	v_fmac_f16_e32 v19, 0x34f2, v14
	v_fmac_f16_e32 v36, 0x34f2, v14
	v_pack_b32_f16 v14, v33, v40
	v_pack_b32_f16 v4, v4, v37
	v_fmac_f16_e32 v42, 0x34f2, v6
	v_fmac_f16_e32 v44, 0x34f2, v6
	v_pack_b32_f16 v6, v21, v26
	v_pack_b32_f16 v3, v3, v8
	v_pack_b32_f16 v8, v12, v41
	v_pack_b32_f16 v7, v7, v45
	v_pack_b32_f16 v13, v25, v38
	ds_store_2addr_b32 v28, v14, v4 offset0:100 offset1:202
	v_pack_b32_f16 v4, v5, v11
	ds_store_2addr_b32 v58, v6, v3 offset1:102
	v_pack_b32_f16 v3, v39, v16
	v_pack_b32_f16 v5, v18, v19
	v_pack_b32_f16 v0, v0, v34
	v_pack_b32_f16 v6, v9, v42
	v_pack_b32_f16 v1, v1, v35
	v_pack_b32_f16 v2, v2, v44
	ds_store_2addr_b32 v30, v8, v7 offset0:72 offset1:174
	v_pack_b32_f16 v7, v10, v36
	ds_store_2addr_b32 v27, v4, v13 offset0:76 offset1:178
	ds_store_2addr_b32 v31, v3, v5 offset0:152 offset1:254
	;; [unrolled: 1-line block ×4, first 2 shown]
	ds_store_b32 v58, v7 offset:5712
	global_wb scope:SCOPE_SE
	s_wait_dscnt 0x0
	s_barrier_signal -1
	s_barrier_wait -1
	global_inv scope:SCOPE_SE
	s_and_b32 exec_lo, exec_lo, vcc_lo
	s_cbranch_execz .LBB0_23
; %bb.22:
	global_load_b32 v0, v55, s[12:13]
	ds_load_b32 v1, v58
	s_mov_b32 s8, 0x156ac015
	s_mov_b32 s9, 0x3f456ac0
	v_mad_co_u64_u32 v[6:7], null, s4, v56, 0
	s_wait_dscnt 0x0
	v_lshrrev_b32_e32 v2, 16, v1
	s_wait_loadcnt 0x0
	v_lshrrev_b32_e32 v3, 16, v0
	s_delay_alu instid0(VALU_DEP_1) | instskip(SKIP_1) | instid1(VALU_DEP_2)
	v_mul_f16_e32 v4, v2, v3
	v_mul_f16_e32 v3, v1, v3
	v_fmac_f16_e32 v4, v1, v0
	s_delay_alu instid0(VALU_DEP_2) | instskip(NEXT) | instid1(VALU_DEP_2)
	v_fma_f16 v0, v0, v2, -v3
	v_cvt_f32_f16_e32 v1, v4
	s_delay_alu instid0(VALU_DEP_2) | instskip(SKIP_1) | instid1(VALU_DEP_3)
	v_cvt_f32_f16_e32 v2, v0
	v_mad_co_u64_u32 v[4:5], null, s6, v211, 0
	v_cvt_f64_f32_e32 v[0:1], v1
	s_delay_alu instid0(VALU_DEP_3) | instskip(SKIP_1) | instid1(VALU_DEP_2)
	v_cvt_f64_f32_e32 v[2:3], v2
	s_wait_alu 0xfffe
	v_mul_f64_e32 v[0:1], s[8:9], v[0:1]
	s_delay_alu instid0(VALU_DEP_2) | instskip(NEXT) | instid1(VALU_DEP_2)
	v_mul_f64_e32 v[2:3], s[8:9], v[2:3]
	v_and_or_b32 v0, 0x1ff, v1, v0
	s_delay_alu instid0(VALU_DEP_2)
	v_and_or_b32 v2, 0x1ff, v3, v2
	v_lshrrev_b32_e32 v8, 8, v1
	v_bfe_u32 v10, v1, 20, 11
	v_lshrrev_b32_e32 v9, 8, v3
	v_cmp_ne_u32_e32 vcc_lo, 0, v0
	v_bfe_u32 v11, v3, 20, 11
	v_mov_b32_e32 v0, v7
	v_sub_nc_u32_e32 v13, 0x3f1, v10
	v_lshrrev_b32_e32 v3, 16, v3
	v_cndmask_b32_e64 v12, 0, 1, vcc_lo
	v_cmp_ne_u32_e32 vcc_lo, 0, v2
	v_sub_nc_u32_e32 v14, 0x3f1, v11
	v_med3_i32 v13, v13, 0, 13
	s_delay_alu instid0(VALU_DEP_4)
	v_and_or_b32 v12, 0xffe, v8, v12
	s_wait_alu 0xfffd
	v_cndmask_b32_e64 v2, 0, 1, vcc_lo
	v_mad_co_u64_u32 v[7:8], null, s7, v211, v[5:6]
	v_med3_i32 v14, v14, 0, 13
	v_or_b32_e32 v15, 0x1000, v12
	s_delay_alu instid0(VALU_DEP_4) | instskip(NEXT) | instid1(VALU_DEP_4)
	v_and_or_b32 v2, 0xffe, v9, v2
	v_mov_b32_e32 v5, v7
	s_delay_alu instid0(VALU_DEP_2) | instskip(SKIP_2) | instid1(VALU_DEP_4)
	v_or_b32_e32 v16, 0x1000, v2
	v_mad_co_u64_u32 v[8:9], null, s5, v56, v[0:1]
	v_lshrrev_b32_e32 v0, v13, v15
	v_lshlrev_b64_e32 v[4:5], 2, v[4:5]
	s_delay_alu instid0(VALU_DEP_4) | instskip(SKIP_1) | instid1(VALU_DEP_3)
	v_lshrrev_b32_e32 v9, v14, v16
	s_mul_u64 s[4:5], s[4:5], 0x168
	v_lshlrev_b32_e32 v13, v13, v0
	s_delay_alu instid0(VALU_DEP_2) | instskip(NEXT) | instid1(VALU_DEP_2)
	v_dual_mov_b32 v7, v8 :: v_dual_lshlrev_b32 v8, v14, v9
	v_cmp_ne_u32_e32 vcc_lo, v13, v15
	s_wait_alu 0xfffd
	v_cndmask_b32_e64 v13, 0, 1, vcc_lo
	s_delay_alu instid0(VALU_DEP_3) | instskip(NEXT) | instid1(VALU_DEP_2)
	v_cmp_ne_u32_e32 vcc_lo, v8, v16
	v_or_b32_e32 v0, v0, v13
	v_add_nc_u32_e32 v11, 0xfffffc10, v11
	s_wait_alu 0xfffd
	v_cndmask_b32_e64 v8, 0, 1, vcc_lo
	s_delay_alu instid0(VALU_DEP_2) | instskip(NEXT) | instid1(VALU_DEP_2)
	v_lshl_or_b32 v13, v11, 12, v2
	v_or_b32_e32 v8, v9, v8
	v_add_nc_u32_e32 v10, 0xfffffc10, v10
	v_lshrrev_b32_e32 v9, 16, v1
	s_delay_alu instid0(VALU_DEP_2) | instskip(SKIP_2) | instid1(VALU_DEP_2)
	v_lshl_or_b32 v14, v10, 12, v12
	v_cmp_gt_i32_e32 vcc_lo, 1, v10
	s_wait_alu 0xfffd
	v_cndmask_b32_e32 v0, v14, v0, vcc_lo
	v_cmp_gt_i32_e32 vcc_lo, 1, v11
	s_wait_alu 0xfffd
	v_cndmask_b32_e32 v1, v13, v8, vcc_lo
	v_cmp_ne_u32_e32 vcc_lo, 0, v12
	v_and_b32_e32 v12, 7, v0
	v_lshrrev_b32_e32 v0, 2, v0
	s_wait_alu 0xfffd
	v_cndmask_b32_e64 v8, 0, 1, vcc_lo
	v_cmp_ne_u32_e32 vcc_lo, 0, v2
	v_cmp_eq_u32_e64 s0, 3, v12
	s_delay_alu instid0(VALU_DEP_3) | instskip(SKIP_3) | instid1(VALU_DEP_2)
	v_lshl_or_b32 v8, v8, 9, 0x7c00
	s_wait_alu 0xfffd
	v_cndmask_b32_e64 v2, 0, 1, vcc_lo
	v_cmp_lt_i32_e32 vcc_lo, 5, v12
	v_lshl_or_b32 v2, v2, 9, 0x7c00
	s_or_b32 vcc_lo, s0, vcc_lo
	s_wait_alu 0xfffe
	v_add_co_ci_u32_e32 v0, vcc_lo, 0, v0, vcc_lo
	v_and_b32_e32 v13, 7, v1
	v_lshrrev_b32_e32 v1, 2, v1
	s_delay_alu instid0(VALU_DEP_2) | instskip(SKIP_1) | instid1(VALU_DEP_1)
	v_cmp_lt_i32_e64 s1, 5, v13
	v_cmp_eq_u32_e64 s2, 3, v13
	s_or_b32 vcc_lo, s2, s1
	s_wait_alu 0xfffe
	v_add_co_ci_u32_e32 v1, vcc_lo, 0, v1, vcc_lo
	v_cmp_gt_i32_e32 vcc_lo, 31, v10
	s_wait_alu 0xfffd
	v_cndmask_b32_e32 v0, 0x7c00, v0, vcc_lo
	v_cmp_gt_i32_e32 vcc_lo, 31, v11
	s_wait_alu 0xfffd
	v_cndmask_b32_e32 v12, 0x7c00, v1, vcc_lo
	v_cmp_eq_u32_e32 vcc_lo, 0x40f, v10
	s_wait_alu 0xfffd
	v_cndmask_b32_e32 v8, v0, v8, vcc_lo
	v_cmp_eq_u32_e32 vcc_lo, 0x40f, v11
	v_lshlrev_b64_e32 v[0:1], 2, v[6:7]
	s_delay_alu instid0(VALU_DEP_3)
	v_and_or_b32 v6, 0x8000, v9, v8
	s_wait_alu 0xfffd
	v_cndmask_b32_e32 v2, v12, v2, vcc_lo
	v_add_co_u32 v4, vcc_lo, s14, v4
	s_wait_alu 0xfffd
	v_add_co_ci_u32_e32 v5, vcc_lo, s15, v5, vcc_lo
	s_delay_alu instid0(VALU_DEP_3) | instskip(SKIP_4) | instid1(VALU_DEP_3)
	v_and_or_b32 v2, 0x8000, v3, v2
	v_and_b32_e32 v3, 0xffff, v6
	v_add_co_u32 v0, vcc_lo, v4, v0
	s_wait_alu 0xfffd
	v_add_co_ci_u32_e32 v1, vcc_lo, v5, v1, vcc_lo
	v_lshl_or_b32 v2, v2, 16, v3
	global_store_b32 v[0:1], v2, off
	global_load_b32 v4, v55, s[12:13] offset:360
	ds_load_2addr_b32 v[2:3], v55 offset0:90 offset1:180
	s_wait_dscnt 0x0
	v_lshrrev_b32_e32 v5, 16, v2
	s_wait_loadcnt 0x0
	v_lshrrev_b32_e32 v6, 16, v4
	s_delay_alu instid0(VALU_DEP_1) | instskip(SKIP_1) | instid1(VALU_DEP_2)
	v_mul_f16_e32 v7, v5, v6
	v_mul_f16_e32 v6, v2, v6
	v_fmac_f16_e32 v7, v2, v4
	s_delay_alu instid0(VALU_DEP_2) | instskip(NEXT) | instid1(VALU_DEP_2)
	v_fma_f16 v2, v4, v5, -v6
	v_cvt_f32_f16_e32 v4, v7
	s_delay_alu instid0(VALU_DEP_2) | instskip(NEXT) | instid1(VALU_DEP_2)
	v_cvt_f32_f16_e32 v2, v2
	v_cvt_f64_f32_e32 v[4:5], v4
	s_delay_alu instid0(VALU_DEP_2) | instskip(NEXT) | instid1(VALU_DEP_2)
	v_cvt_f64_f32_e32 v[6:7], v2
	v_mul_f64_e32 v[4:5], s[8:9], v[4:5]
	s_delay_alu instid0(VALU_DEP_2) | instskip(NEXT) | instid1(VALU_DEP_2)
	v_mul_f64_e32 v[6:7], s[8:9], v[6:7]
	v_and_or_b32 v2, 0x1ff, v5, v4
	s_delay_alu instid0(VALU_DEP_2)
	v_and_or_b32 v6, 0x1ff, v7, v6
	v_lshrrev_b32_e32 v4, 8, v5
	v_bfe_u32 v8, v5, 20, 11
	v_lshrrev_b32_e32 v9, 8, v7
	v_cmp_ne_u32_e32 vcc_lo, 0, v2
	v_bfe_u32 v10, v7, 20, 11
	v_lshrrev_b32_e32 v5, 16, v5
	v_sub_nc_u32_e32 v11, 0x3f1, v8
	v_add_nc_u32_e32 v8, 0xfffffc10, v8
	s_wait_alu 0xfffd
	v_cndmask_b32_e64 v2, 0, 1, vcc_lo
	v_cmp_ne_u32_e32 vcc_lo, 0, v6
	v_lshrrev_b32_e32 v7, 16, v7
	s_delay_alu instid0(VALU_DEP_3) | instskip(SKIP_4) | instid1(VALU_DEP_3)
	v_and_or_b32 v2, 0xffe, v4, v2
	s_wait_alu 0xfffd
	v_cndmask_b32_e64 v6, 0, 1, vcc_lo
	v_sub_nc_u32_e32 v4, 0x3f1, v10
	v_add_nc_u32_e32 v10, 0xfffffc10, v10
	v_and_or_b32 v6, 0xffe, v9, v6
	v_med3_i32 v9, v11, 0, 13
	v_or_b32_e32 v11, 0x1000, v2
	v_med3_i32 v4, v4, 0, 13
	s_delay_alu instid0(VALU_DEP_4) | instskip(NEXT) | instid1(VALU_DEP_3)
	v_or_b32_e32 v12, 0x1000, v6
	v_lshrrev_b32_e32 v13, v9, v11
	s_delay_alu instid0(VALU_DEP_2) | instskip(NEXT) | instid1(VALU_DEP_2)
	v_lshrrev_b32_e32 v14, v4, v12
	v_lshlrev_b32_e32 v9, v9, v13
	s_delay_alu instid0(VALU_DEP_2) | instskip(NEXT) | instid1(VALU_DEP_2)
	v_lshlrev_b32_e32 v4, v4, v14
	v_cmp_ne_u32_e32 vcc_lo, v9, v11
	v_lshl_or_b32 v11, v8, 12, v2
	s_wait_alu 0xfffd
	v_cndmask_b32_e64 v9, 0, 1, vcc_lo
	v_cmp_ne_u32_e32 vcc_lo, v4, v12
	v_lshl_or_b32 v12, v10, 12, v6
	s_delay_alu instid0(VALU_DEP_3) | instskip(SKIP_3) | instid1(VALU_DEP_2)
	v_or_b32_e32 v9, v13, v9
	s_wait_alu 0xfffd
	v_cndmask_b32_e64 v4, 0, 1, vcc_lo
	v_cmp_gt_i32_e32 vcc_lo, 1, v8
	v_or_b32_e32 v4, v14, v4
	s_wait_alu 0xfffd
	v_cndmask_b32_e32 v9, v11, v9, vcc_lo
	v_cmp_gt_i32_e32 vcc_lo, 1, v10
	s_wait_alu 0xfffd
	s_delay_alu instid0(VALU_DEP_2) | instskip(SKIP_2) | instid1(VALU_DEP_3)
	v_dual_cndmask_b32 v4, v12, v4 :: v_dual_and_b32 v11, 7, v9
	v_cmp_ne_u32_e32 vcc_lo, 0, v2
	v_lshrrev_b32_e32 v9, 2, v9
	v_cmp_eq_u32_e64 s0, 3, v11
	s_delay_alu instid0(VALU_DEP_4)
	v_and_b32_e32 v12, 7, v4
	s_wait_alu 0xfffd
	v_cndmask_b32_e64 v2, 0, 1, vcc_lo
	v_cmp_ne_u32_e32 vcc_lo, 0, v6
	v_lshrrev_b32_e32 v4, 2, v4
	v_cmp_lt_i32_e64 s1, 5, v12
	v_cmp_eq_u32_e64 s2, 3, v12
	s_wait_alu 0xfffd
	v_cndmask_b32_e64 v6, 0, 1, vcc_lo
	v_cmp_lt_i32_e32 vcc_lo, 5, v11
	v_lshl_or_b32 v2, v2, 9, 0x7c00
	s_delay_alu instid0(VALU_DEP_3)
	v_lshl_or_b32 v6, v6, 9, 0x7c00
	s_or_b32 vcc_lo, s0, vcc_lo
	s_wait_alu 0xfffe
	v_add_co_ci_u32_e32 v9, vcc_lo, 0, v9, vcc_lo
	s_or_b32 vcc_lo, s2, s1
	s_wait_alu 0xfffe
	v_add_co_ci_u32_e32 v4, vcc_lo, 0, v4, vcc_lo
	v_cmp_gt_i32_e32 vcc_lo, 31, v8
	s_wait_alu 0xfffd
	v_cndmask_b32_e32 v9, 0x7c00, v9, vcc_lo
	v_cmp_gt_i32_e32 vcc_lo, 31, v10
	s_wait_alu 0xfffd
	v_cndmask_b32_e32 v4, 0x7c00, v4, vcc_lo
	v_cmp_eq_u32_e32 vcc_lo, 0x40f, v8
	s_wait_alu 0xfffd
	v_cndmask_b32_e32 v2, v9, v2, vcc_lo
	v_cmp_eq_u32_e32 vcc_lo, 0x40f, v10
	s_delay_alu instid0(VALU_DEP_2)
	v_and_or_b32 v2, 0x8000, v5, v2
	s_wait_alu 0xfffd
	v_cndmask_b32_e32 v4, v4, v6, vcc_lo
	v_add_co_u32 v0, vcc_lo, v0, s4
	s_wait_alu 0xfffd
	v_add_co_ci_u32_e32 v1, vcc_lo, s5, v1, vcc_lo
	s_delay_alu instid0(VALU_DEP_3) | instskip(SKIP_1) | instid1(VALU_DEP_1)
	v_and_or_b32 v4, 0x8000, v7, v4
	v_and_b32_e32 v2, 0xffff, v2
	v_lshl_or_b32 v2, v4, 16, v2
	v_lshrrev_b32_e32 v4, 16, v3
	global_store_b32 v[0:1], v2, off
	global_load_b32 v2, v55, s[12:13] offset:720
	s_wait_loadcnt 0x0
	v_lshrrev_b32_e32 v5, 16, v2
	s_delay_alu instid0(VALU_DEP_1) | instskip(SKIP_1) | instid1(VALU_DEP_2)
	v_mul_f16_e32 v6, v4, v5
	v_mul_f16_e32 v5, v3, v5
	v_fmac_f16_e32 v6, v3, v2
	s_delay_alu instid0(VALU_DEP_2) | instskip(NEXT) | instid1(VALU_DEP_2)
	v_fma_f16 v2, v2, v4, -v5
	v_cvt_f32_f16_e32 v3, v6
	s_delay_alu instid0(VALU_DEP_2) | instskip(NEXT) | instid1(VALU_DEP_2)
	v_cvt_f32_f16_e32 v4, v2
	v_cvt_f64_f32_e32 v[2:3], v3
	s_delay_alu instid0(VALU_DEP_2) | instskip(NEXT) | instid1(VALU_DEP_2)
	v_cvt_f64_f32_e32 v[4:5], v4
	v_mul_f64_e32 v[2:3], s[8:9], v[2:3]
	s_delay_alu instid0(VALU_DEP_2) | instskip(NEXT) | instid1(VALU_DEP_2)
	v_mul_f64_e32 v[4:5], s[8:9], v[4:5]
	v_and_or_b32 v2, 0x1ff, v3, v2
	s_delay_alu instid0(VALU_DEP_2)
	v_and_or_b32 v4, 0x1ff, v5, v4
	v_lshrrev_b32_e32 v6, 8, v3
	v_bfe_u32 v7, v3, 20, 11
	v_lshrrev_b32_e32 v8, 8, v5
	v_cmp_ne_u32_e32 vcc_lo, 0, v2
	v_bfe_u32 v9, v5, 20, 11
	v_lshrrev_b32_e32 v3, 16, v3
	v_sub_nc_u32_e32 v10, 0x3f1, v7
	v_add_nc_u32_e32 v7, 0xfffffc10, v7
	s_wait_alu 0xfffd
	v_cndmask_b32_e64 v2, 0, 1, vcc_lo
	v_cmp_ne_u32_e32 vcc_lo, 0, v4
	v_lshrrev_b32_e32 v5, 16, v5
	s_delay_alu instid0(VALU_DEP_3) | instskip(SKIP_4) | instid1(VALU_DEP_3)
	v_and_or_b32 v2, 0xffe, v6, v2
	s_wait_alu 0xfffd
	v_cndmask_b32_e64 v4, 0, 1, vcc_lo
	v_sub_nc_u32_e32 v6, 0x3f1, v9
	v_add_nc_u32_e32 v9, 0xfffffc10, v9
	v_and_or_b32 v4, 0xffe, v8, v4
	v_med3_i32 v8, v10, 0, 13
	v_or_b32_e32 v10, 0x1000, v2
	v_med3_i32 v6, v6, 0, 13
	s_delay_alu instid0(VALU_DEP_4) | instskip(NEXT) | instid1(VALU_DEP_3)
	v_or_b32_e32 v11, 0x1000, v4
	v_lshrrev_b32_e32 v12, v8, v10
	s_delay_alu instid0(VALU_DEP_2) | instskip(NEXT) | instid1(VALU_DEP_2)
	v_lshrrev_b32_e32 v13, v6, v11
	v_lshlrev_b32_e32 v8, v8, v12
	s_delay_alu instid0(VALU_DEP_2) | instskip(NEXT) | instid1(VALU_DEP_2)
	v_lshlrev_b32_e32 v6, v6, v13
	v_cmp_ne_u32_e32 vcc_lo, v8, v10
	v_lshl_or_b32 v10, v7, 12, v2
	s_wait_alu 0xfffd
	v_cndmask_b32_e64 v8, 0, 1, vcc_lo
	v_cmp_ne_u32_e32 vcc_lo, v6, v11
	v_lshl_or_b32 v11, v9, 12, v4
	s_delay_alu instid0(VALU_DEP_3) | instskip(SKIP_3) | instid1(VALU_DEP_2)
	v_or_b32_e32 v8, v12, v8
	s_wait_alu 0xfffd
	v_cndmask_b32_e64 v6, 0, 1, vcc_lo
	v_cmp_gt_i32_e32 vcc_lo, 1, v7
	v_or_b32_e32 v6, v13, v6
	s_wait_alu 0xfffd
	v_cndmask_b32_e32 v8, v10, v8, vcc_lo
	v_cmp_gt_i32_e32 vcc_lo, 1, v9
	s_delay_alu instid0(VALU_DEP_2)
	v_and_b32_e32 v10, 7, v8
	s_wait_alu 0xfffd
	v_cndmask_b32_e32 v6, v11, v6, vcc_lo
	v_cmp_ne_u32_e32 vcc_lo, 0, v2
	v_lshrrev_b32_e32 v8, 2, v8
	v_cmp_eq_u32_e64 s0, 3, v10
	s_delay_alu instid0(VALU_DEP_4)
	v_and_b32_e32 v11, 7, v6
	s_wait_alu 0xfffd
	v_cndmask_b32_e64 v2, 0, 1, vcc_lo
	v_cmp_ne_u32_e32 vcc_lo, 0, v4
	v_lshrrev_b32_e32 v6, 2, v6
	v_cmp_lt_i32_e64 s1, 5, v11
	v_cmp_eq_u32_e64 s2, 3, v11
	s_wait_alu 0xfffd
	v_cndmask_b32_e64 v4, 0, 1, vcc_lo
	v_cmp_lt_i32_e32 vcc_lo, 5, v10
	v_lshl_or_b32 v2, v2, 9, 0x7c00
	s_delay_alu instid0(VALU_DEP_3)
	v_lshl_or_b32 v4, v4, 9, 0x7c00
	s_or_b32 vcc_lo, s0, vcc_lo
	s_wait_alu 0xfffe
	v_add_co_ci_u32_e32 v8, vcc_lo, 0, v8, vcc_lo
	s_or_b32 vcc_lo, s2, s1
	s_wait_alu 0xfffe
	v_add_co_ci_u32_e32 v6, vcc_lo, 0, v6, vcc_lo
	v_cmp_gt_i32_e32 vcc_lo, 31, v7
	s_wait_alu 0xfffd
	v_cndmask_b32_e32 v8, 0x7c00, v8, vcc_lo
	v_cmp_gt_i32_e32 vcc_lo, 31, v9
	s_wait_alu 0xfffd
	v_cndmask_b32_e32 v6, 0x7c00, v6, vcc_lo
	v_cmp_eq_u32_e32 vcc_lo, 0x40f, v7
	s_wait_alu 0xfffd
	v_cndmask_b32_e32 v2, v8, v2, vcc_lo
	v_cmp_eq_u32_e32 vcc_lo, 0x40f, v9
	s_delay_alu instid0(VALU_DEP_2)
	v_and_or_b32 v2, 0x8000, v3, v2
	s_wait_alu 0xfffd
	v_cndmask_b32_e32 v4, v6, v4, vcc_lo
	v_add_co_u32 v0, vcc_lo, v0, s4
	s_wait_alu 0xfffd
	v_add_co_ci_u32_e32 v1, vcc_lo, s5, v1, vcc_lo
	s_delay_alu instid0(VALU_DEP_3) | instskip(SKIP_1) | instid1(VALU_DEP_1)
	v_and_or_b32 v3, 0x8000, v5, v4
	v_and_b32_e32 v2, 0xffff, v2
	v_lshl_or_b32 v2, v3, 16, v2
	global_store_b32 v[0:1], v2, off
	global_load_b32 v4, v55, s[12:13] offset:1080
	v_add_nc_u32_e32 v2, 0x400, v55
	ds_load_2addr_b32 v[2:3], v2 offset0:14 offset1:104
	s_wait_dscnt 0x0
	v_lshrrev_b32_e32 v5, 16, v2
	s_wait_loadcnt 0x0
	v_lshrrev_b32_e32 v6, 16, v4
	s_delay_alu instid0(VALU_DEP_1) | instskip(SKIP_1) | instid1(VALU_DEP_2)
	v_mul_f16_e32 v7, v5, v6
	v_mul_f16_e32 v6, v2, v6
	v_fmac_f16_e32 v7, v2, v4
	s_delay_alu instid0(VALU_DEP_2) | instskip(NEXT) | instid1(VALU_DEP_2)
	v_fma_f16 v2, v4, v5, -v6
	v_cvt_f32_f16_e32 v4, v7
	s_delay_alu instid0(VALU_DEP_2) | instskip(NEXT) | instid1(VALU_DEP_2)
	v_cvt_f32_f16_e32 v2, v2
	v_cvt_f64_f32_e32 v[4:5], v4
	s_delay_alu instid0(VALU_DEP_2) | instskip(NEXT) | instid1(VALU_DEP_2)
	v_cvt_f64_f32_e32 v[6:7], v2
	v_mul_f64_e32 v[4:5], s[8:9], v[4:5]
	s_delay_alu instid0(VALU_DEP_2) | instskip(NEXT) | instid1(VALU_DEP_2)
	v_mul_f64_e32 v[6:7], s[8:9], v[6:7]
	v_and_or_b32 v2, 0x1ff, v5, v4
	s_delay_alu instid0(VALU_DEP_2)
	v_and_or_b32 v6, 0x1ff, v7, v6
	v_lshrrev_b32_e32 v4, 8, v5
	v_bfe_u32 v8, v5, 20, 11
	v_lshrrev_b32_e32 v9, 8, v7
	v_cmp_ne_u32_e32 vcc_lo, 0, v2
	v_bfe_u32 v10, v7, 20, 11
	v_lshrrev_b32_e32 v5, 16, v5
	v_sub_nc_u32_e32 v11, 0x3f1, v8
	v_add_nc_u32_e32 v8, 0xfffffc10, v8
	s_wait_alu 0xfffd
	v_cndmask_b32_e64 v2, 0, 1, vcc_lo
	v_cmp_ne_u32_e32 vcc_lo, 0, v6
	v_lshrrev_b32_e32 v7, 16, v7
	s_delay_alu instid0(VALU_DEP_3) | instskip(SKIP_4) | instid1(VALU_DEP_3)
	v_and_or_b32 v2, 0xffe, v4, v2
	s_wait_alu 0xfffd
	v_cndmask_b32_e64 v6, 0, 1, vcc_lo
	v_sub_nc_u32_e32 v4, 0x3f1, v10
	v_add_nc_u32_e32 v10, 0xfffffc10, v10
	v_and_or_b32 v6, 0xffe, v9, v6
	v_med3_i32 v9, v11, 0, 13
	v_or_b32_e32 v11, 0x1000, v2
	v_med3_i32 v4, v4, 0, 13
	s_delay_alu instid0(VALU_DEP_4) | instskip(NEXT) | instid1(VALU_DEP_3)
	v_or_b32_e32 v12, 0x1000, v6
	v_lshrrev_b32_e32 v13, v9, v11
	s_delay_alu instid0(VALU_DEP_2) | instskip(NEXT) | instid1(VALU_DEP_2)
	v_lshrrev_b32_e32 v14, v4, v12
	v_lshlrev_b32_e32 v9, v9, v13
	s_delay_alu instid0(VALU_DEP_2) | instskip(NEXT) | instid1(VALU_DEP_2)
	v_lshlrev_b32_e32 v4, v4, v14
	v_cmp_ne_u32_e32 vcc_lo, v9, v11
	v_lshl_or_b32 v11, v8, 12, v2
	s_wait_alu 0xfffd
	v_cndmask_b32_e64 v9, 0, 1, vcc_lo
	v_cmp_ne_u32_e32 vcc_lo, v4, v12
	v_lshl_or_b32 v12, v10, 12, v6
	s_delay_alu instid0(VALU_DEP_3) | instskip(SKIP_3) | instid1(VALU_DEP_2)
	v_or_b32_e32 v9, v13, v9
	s_wait_alu 0xfffd
	v_cndmask_b32_e64 v4, 0, 1, vcc_lo
	v_cmp_gt_i32_e32 vcc_lo, 1, v8
	v_or_b32_e32 v4, v14, v4
	s_wait_alu 0xfffd
	v_cndmask_b32_e32 v9, v11, v9, vcc_lo
	v_cmp_gt_i32_e32 vcc_lo, 1, v10
	s_wait_alu 0xfffd
	s_delay_alu instid0(VALU_DEP_2) | instskip(SKIP_2) | instid1(VALU_DEP_3)
	v_dual_cndmask_b32 v4, v12, v4 :: v_dual_and_b32 v11, 7, v9
	v_cmp_ne_u32_e32 vcc_lo, 0, v2
	v_lshrrev_b32_e32 v9, 2, v9
	v_cmp_eq_u32_e64 s0, 3, v11
	s_delay_alu instid0(VALU_DEP_4)
	v_and_b32_e32 v12, 7, v4
	s_wait_alu 0xfffd
	v_cndmask_b32_e64 v2, 0, 1, vcc_lo
	v_cmp_ne_u32_e32 vcc_lo, 0, v6
	v_lshrrev_b32_e32 v4, 2, v4
	v_cmp_lt_i32_e64 s1, 5, v12
	v_cmp_eq_u32_e64 s2, 3, v12
	s_wait_alu 0xfffd
	v_cndmask_b32_e64 v6, 0, 1, vcc_lo
	v_cmp_lt_i32_e32 vcc_lo, 5, v11
	v_lshl_or_b32 v2, v2, 9, 0x7c00
	s_delay_alu instid0(VALU_DEP_3)
	v_lshl_or_b32 v6, v6, 9, 0x7c00
	s_or_b32 vcc_lo, s0, vcc_lo
	s_wait_alu 0xfffe
	v_add_co_ci_u32_e32 v9, vcc_lo, 0, v9, vcc_lo
	s_or_b32 vcc_lo, s2, s1
	s_wait_alu 0xfffe
	v_add_co_ci_u32_e32 v4, vcc_lo, 0, v4, vcc_lo
	v_cmp_gt_i32_e32 vcc_lo, 31, v8
	s_wait_alu 0xfffd
	v_cndmask_b32_e32 v9, 0x7c00, v9, vcc_lo
	v_cmp_gt_i32_e32 vcc_lo, 31, v10
	s_wait_alu 0xfffd
	v_cndmask_b32_e32 v4, 0x7c00, v4, vcc_lo
	v_cmp_eq_u32_e32 vcc_lo, 0x40f, v8
	s_wait_alu 0xfffd
	v_cndmask_b32_e32 v2, v9, v2, vcc_lo
	v_cmp_eq_u32_e32 vcc_lo, 0x40f, v10
	s_delay_alu instid0(VALU_DEP_2)
	v_and_or_b32 v2, 0x8000, v5, v2
	s_wait_alu 0xfffd
	v_cndmask_b32_e32 v4, v4, v6, vcc_lo
	v_add_co_u32 v0, vcc_lo, v0, s4
	s_wait_alu 0xfffd
	v_add_co_ci_u32_e32 v1, vcc_lo, s5, v1, vcc_lo
	s_delay_alu instid0(VALU_DEP_3) | instskip(SKIP_1) | instid1(VALU_DEP_1)
	v_and_or_b32 v4, 0x8000, v7, v4
	v_and_b32_e32 v2, 0xffff, v2
	v_lshl_or_b32 v2, v4, 16, v2
	v_lshrrev_b32_e32 v4, 16, v3
	global_store_b32 v[0:1], v2, off
	global_load_b32 v2, v55, s[12:13] offset:1440
	s_wait_loadcnt 0x0
	v_lshrrev_b32_e32 v5, 16, v2
	s_delay_alu instid0(VALU_DEP_1) | instskip(SKIP_1) | instid1(VALU_DEP_2)
	v_mul_f16_e32 v6, v4, v5
	v_mul_f16_e32 v5, v3, v5
	v_fmac_f16_e32 v6, v3, v2
	s_delay_alu instid0(VALU_DEP_2) | instskip(NEXT) | instid1(VALU_DEP_2)
	v_fma_f16 v2, v2, v4, -v5
	v_cvt_f32_f16_e32 v3, v6
	s_delay_alu instid0(VALU_DEP_2) | instskip(NEXT) | instid1(VALU_DEP_2)
	v_cvt_f32_f16_e32 v4, v2
	v_cvt_f64_f32_e32 v[2:3], v3
	s_delay_alu instid0(VALU_DEP_2) | instskip(NEXT) | instid1(VALU_DEP_2)
	v_cvt_f64_f32_e32 v[4:5], v4
	v_mul_f64_e32 v[2:3], s[8:9], v[2:3]
	s_delay_alu instid0(VALU_DEP_2) | instskip(NEXT) | instid1(VALU_DEP_2)
	v_mul_f64_e32 v[4:5], s[8:9], v[4:5]
	v_and_or_b32 v2, 0x1ff, v3, v2
	s_delay_alu instid0(VALU_DEP_2)
	v_and_or_b32 v4, 0x1ff, v5, v4
	v_lshrrev_b32_e32 v6, 8, v3
	v_bfe_u32 v7, v3, 20, 11
	v_lshrrev_b32_e32 v8, 8, v5
	v_cmp_ne_u32_e32 vcc_lo, 0, v2
	v_bfe_u32 v9, v5, 20, 11
	v_lshrrev_b32_e32 v3, 16, v3
	v_sub_nc_u32_e32 v10, 0x3f1, v7
	v_add_nc_u32_e32 v7, 0xfffffc10, v7
	s_wait_alu 0xfffd
	v_cndmask_b32_e64 v2, 0, 1, vcc_lo
	v_cmp_ne_u32_e32 vcc_lo, 0, v4
	v_lshrrev_b32_e32 v5, 16, v5
	s_delay_alu instid0(VALU_DEP_3) | instskip(SKIP_4) | instid1(VALU_DEP_3)
	v_and_or_b32 v2, 0xffe, v6, v2
	s_wait_alu 0xfffd
	v_cndmask_b32_e64 v4, 0, 1, vcc_lo
	v_sub_nc_u32_e32 v6, 0x3f1, v9
	v_add_nc_u32_e32 v9, 0xfffffc10, v9
	v_and_or_b32 v4, 0xffe, v8, v4
	v_med3_i32 v8, v10, 0, 13
	v_or_b32_e32 v10, 0x1000, v2
	v_med3_i32 v6, v6, 0, 13
	s_delay_alu instid0(VALU_DEP_4) | instskip(NEXT) | instid1(VALU_DEP_3)
	v_or_b32_e32 v11, 0x1000, v4
	v_lshrrev_b32_e32 v12, v8, v10
	s_delay_alu instid0(VALU_DEP_2) | instskip(NEXT) | instid1(VALU_DEP_2)
	v_lshrrev_b32_e32 v13, v6, v11
	v_lshlrev_b32_e32 v8, v8, v12
	s_delay_alu instid0(VALU_DEP_2) | instskip(NEXT) | instid1(VALU_DEP_2)
	v_lshlrev_b32_e32 v6, v6, v13
	v_cmp_ne_u32_e32 vcc_lo, v8, v10
	v_lshl_or_b32 v10, v7, 12, v2
	s_wait_alu 0xfffd
	v_cndmask_b32_e64 v8, 0, 1, vcc_lo
	v_cmp_ne_u32_e32 vcc_lo, v6, v11
	v_lshl_or_b32 v11, v9, 12, v4
	s_delay_alu instid0(VALU_DEP_3) | instskip(SKIP_3) | instid1(VALU_DEP_2)
	v_or_b32_e32 v8, v12, v8
	s_wait_alu 0xfffd
	v_cndmask_b32_e64 v6, 0, 1, vcc_lo
	v_cmp_gt_i32_e32 vcc_lo, 1, v7
	v_or_b32_e32 v6, v13, v6
	s_wait_alu 0xfffd
	v_cndmask_b32_e32 v8, v10, v8, vcc_lo
	v_cmp_gt_i32_e32 vcc_lo, 1, v9
	s_delay_alu instid0(VALU_DEP_2)
	v_and_b32_e32 v10, 7, v8
	s_wait_alu 0xfffd
	v_cndmask_b32_e32 v6, v11, v6, vcc_lo
	v_cmp_ne_u32_e32 vcc_lo, 0, v2
	v_lshrrev_b32_e32 v8, 2, v8
	v_cmp_eq_u32_e64 s0, 3, v10
	s_delay_alu instid0(VALU_DEP_4)
	v_and_b32_e32 v11, 7, v6
	s_wait_alu 0xfffd
	v_cndmask_b32_e64 v2, 0, 1, vcc_lo
	v_cmp_ne_u32_e32 vcc_lo, 0, v4
	v_lshrrev_b32_e32 v6, 2, v6
	v_cmp_lt_i32_e64 s1, 5, v11
	v_cmp_eq_u32_e64 s2, 3, v11
	s_wait_alu 0xfffd
	v_cndmask_b32_e64 v4, 0, 1, vcc_lo
	v_cmp_lt_i32_e32 vcc_lo, 5, v10
	v_lshl_or_b32 v2, v2, 9, 0x7c00
	s_delay_alu instid0(VALU_DEP_3)
	v_lshl_or_b32 v4, v4, 9, 0x7c00
	s_or_b32 vcc_lo, s0, vcc_lo
	s_wait_alu 0xfffe
	v_add_co_ci_u32_e32 v8, vcc_lo, 0, v8, vcc_lo
	s_or_b32 vcc_lo, s2, s1
	s_wait_alu 0xfffe
	v_add_co_ci_u32_e32 v6, vcc_lo, 0, v6, vcc_lo
	v_cmp_gt_i32_e32 vcc_lo, 31, v7
	s_wait_alu 0xfffd
	v_cndmask_b32_e32 v8, 0x7c00, v8, vcc_lo
	v_cmp_gt_i32_e32 vcc_lo, 31, v9
	s_wait_alu 0xfffd
	v_cndmask_b32_e32 v6, 0x7c00, v6, vcc_lo
	v_cmp_eq_u32_e32 vcc_lo, 0x40f, v7
	s_wait_alu 0xfffd
	v_cndmask_b32_e32 v2, v8, v2, vcc_lo
	v_cmp_eq_u32_e32 vcc_lo, 0x40f, v9
	s_delay_alu instid0(VALU_DEP_2)
	v_and_or_b32 v2, 0x8000, v3, v2
	s_wait_alu 0xfffd
	v_cndmask_b32_e32 v4, v6, v4, vcc_lo
	v_add_co_u32 v0, vcc_lo, v0, s4
	s_wait_alu 0xfffd
	v_add_co_ci_u32_e32 v1, vcc_lo, s5, v1, vcc_lo
	s_delay_alu instid0(VALU_DEP_3) | instskip(SKIP_1) | instid1(VALU_DEP_1)
	v_and_or_b32 v3, 0x8000, v5, v4
	v_and_b32_e32 v2, 0xffff, v2
	v_lshl_or_b32 v2, v3, 16, v2
	global_store_b32 v[0:1], v2, off
	global_load_b32 v4, v55, s[12:13] offset:1800
	v_add_nc_u32_e32 v2, 0x600, v55
	ds_load_2addr_b32 v[2:3], v2 offset0:66 offset1:156
	s_wait_dscnt 0x0
	v_lshrrev_b32_e32 v5, 16, v2
	s_wait_loadcnt 0x0
	v_lshrrev_b32_e32 v6, 16, v4
	s_delay_alu instid0(VALU_DEP_1) | instskip(SKIP_1) | instid1(VALU_DEP_2)
	v_mul_f16_e32 v7, v5, v6
	v_mul_f16_e32 v6, v2, v6
	v_fmac_f16_e32 v7, v2, v4
	s_delay_alu instid0(VALU_DEP_2) | instskip(NEXT) | instid1(VALU_DEP_2)
	v_fma_f16 v2, v4, v5, -v6
	v_cvt_f32_f16_e32 v4, v7
	s_delay_alu instid0(VALU_DEP_2) | instskip(NEXT) | instid1(VALU_DEP_2)
	v_cvt_f32_f16_e32 v2, v2
	v_cvt_f64_f32_e32 v[4:5], v4
	s_delay_alu instid0(VALU_DEP_2) | instskip(NEXT) | instid1(VALU_DEP_2)
	v_cvt_f64_f32_e32 v[6:7], v2
	v_mul_f64_e32 v[4:5], s[8:9], v[4:5]
	s_delay_alu instid0(VALU_DEP_2) | instskip(NEXT) | instid1(VALU_DEP_2)
	v_mul_f64_e32 v[6:7], s[8:9], v[6:7]
	v_and_or_b32 v2, 0x1ff, v5, v4
	s_delay_alu instid0(VALU_DEP_2)
	v_and_or_b32 v6, 0x1ff, v7, v6
	v_lshrrev_b32_e32 v4, 8, v5
	v_bfe_u32 v8, v5, 20, 11
	v_lshrrev_b32_e32 v9, 8, v7
	v_cmp_ne_u32_e32 vcc_lo, 0, v2
	v_bfe_u32 v10, v7, 20, 11
	v_lshrrev_b32_e32 v5, 16, v5
	v_sub_nc_u32_e32 v11, 0x3f1, v8
	v_add_nc_u32_e32 v8, 0xfffffc10, v8
	s_wait_alu 0xfffd
	v_cndmask_b32_e64 v2, 0, 1, vcc_lo
	v_cmp_ne_u32_e32 vcc_lo, 0, v6
	v_lshrrev_b32_e32 v7, 16, v7
	s_delay_alu instid0(VALU_DEP_3) | instskip(SKIP_4) | instid1(VALU_DEP_3)
	v_and_or_b32 v2, 0xffe, v4, v2
	s_wait_alu 0xfffd
	v_cndmask_b32_e64 v6, 0, 1, vcc_lo
	v_sub_nc_u32_e32 v4, 0x3f1, v10
	v_add_nc_u32_e32 v10, 0xfffffc10, v10
	v_and_or_b32 v6, 0xffe, v9, v6
	v_med3_i32 v9, v11, 0, 13
	v_or_b32_e32 v11, 0x1000, v2
	v_med3_i32 v4, v4, 0, 13
	s_delay_alu instid0(VALU_DEP_4) | instskip(NEXT) | instid1(VALU_DEP_3)
	v_or_b32_e32 v12, 0x1000, v6
	v_lshrrev_b32_e32 v13, v9, v11
	s_delay_alu instid0(VALU_DEP_2) | instskip(NEXT) | instid1(VALU_DEP_2)
	v_lshrrev_b32_e32 v14, v4, v12
	v_lshlrev_b32_e32 v9, v9, v13
	s_delay_alu instid0(VALU_DEP_2) | instskip(NEXT) | instid1(VALU_DEP_2)
	v_lshlrev_b32_e32 v4, v4, v14
	v_cmp_ne_u32_e32 vcc_lo, v9, v11
	v_lshl_or_b32 v11, v8, 12, v2
	s_wait_alu 0xfffd
	v_cndmask_b32_e64 v9, 0, 1, vcc_lo
	v_cmp_ne_u32_e32 vcc_lo, v4, v12
	v_lshl_or_b32 v12, v10, 12, v6
	s_delay_alu instid0(VALU_DEP_3) | instskip(SKIP_3) | instid1(VALU_DEP_2)
	v_or_b32_e32 v9, v13, v9
	s_wait_alu 0xfffd
	v_cndmask_b32_e64 v4, 0, 1, vcc_lo
	v_cmp_gt_i32_e32 vcc_lo, 1, v8
	v_or_b32_e32 v4, v14, v4
	s_wait_alu 0xfffd
	v_cndmask_b32_e32 v9, v11, v9, vcc_lo
	v_cmp_gt_i32_e32 vcc_lo, 1, v10
	s_wait_alu 0xfffd
	s_delay_alu instid0(VALU_DEP_2) | instskip(SKIP_2) | instid1(VALU_DEP_3)
	v_dual_cndmask_b32 v4, v12, v4 :: v_dual_and_b32 v11, 7, v9
	v_cmp_ne_u32_e32 vcc_lo, 0, v2
	v_lshrrev_b32_e32 v9, 2, v9
	v_cmp_eq_u32_e64 s0, 3, v11
	s_delay_alu instid0(VALU_DEP_4)
	v_and_b32_e32 v12, 7, v4
	s_wait_alu 0xfffd
	v_cndmask_b32_e64 v2, 0, 1, vcc_lo
	v_cmp_ne_u32_e32 vcc_lo, 0, v6
	v_lshrrev_b32_e32 v4, 2, v4
	v_cmp_lt_i32_e64 s1, 5, v12
	v_cmp_eq_u32_e64 s2, 3, v12
	s_wait_alu 0xfffd
	v_cndmask_b32_e64 v6, 0, 1, vcc_lo
	v_cmp_lt_i32_e32 vcc_lo, 5, v11
	v_lshl_or_b32 v2, v2, 9, 0x7c00
	s_delay_alu instid0(VALU_DEP_3)
	v_lshl_or_b32 v6, v6, 9, 0x7c00
	s_or_b32 vcc_lo, s0, vcc_lo
	s_wait_alu 0xfffe
	v_add_co_ci_u32_e32 v9, vcc_lo, 0, v9, vcc_lo
	s_or_b32 vcc_lo, s2, s1
	s_wait_alu 0xfffe
	v_add_co_ci_u32_e32 v4, vcc_lo, 0, v4, vcc_lo
	v_cmp_gt_i32_e32 vcc_lo, 31, v8
	s_wait_alu 0xfffd
	v_cndmask_b32_e32 v9, 0x7c00, v9, vcc_lo
	v_cmp_gt_i32_e32 vcc_lo, 31, v10
	s_wait_alu 0xfffd
	v_cndmask_b32_e32 v4, 0x7c00, v4, vcc_lo
	v_cmp_eq_u32_e32 vcc_lo, 0x40f, v8
	s_wait_alu 0xfffd
	v_cndmask_b32_e32 v2, v9, v2, vcc_lo
	v_cmp_eq_u32_e32 vcc_lo, 0x40f, v10
	s_delay_alu instid0(VALU_DEP_2)
	v_and_or_b32 v2, 0x8000, v5, v2
	s_wait_alu 0xfffd
	v_cndmask_b32_e32 v4, v4, v6, vcc_lo
	v_add_co_u32 v0, vcc_lo, v0, s4
	s_wait_alu 0xfffd
	v_add_co_ci_u32_e32 v1, vcc_lo, s5, v1, vcc_lo
	s_delay_alu instid0(VALU_DEP_3) | instskip(SKIP_1) | instid1(VALU_DEP_1)
	v_and_or_b32 v4, 0x8000, v7, v4
	v_and_b32_e32 v2, 0xffff, v2
	v_lshl_or_b32 v2, v4, 16, v2
	v_lshrrev_b32_e32 v4, 16, v3
	global_store_b32 v[0:1], v2, off
	global_load_b32 v2, v55, s[12:13] offset:2160
	s_wait_loadcnt 0x0
	v_lshrrev_b32_e32 v5, 16, v2
	s_delay_alu instid0(VALU_DEP_1) | instskip(SKIP_1) | instid1(VALU_DEP_2)
	v_mul_f16_e32 v6, v4, v5
	v_mul_f16_e32 v5, v3, v5
	v_fmac_f16_e32 v6, v3, v2
	s_delay_alu instid0(VALU_DEP_2) | instskip(NEXT) | instid1(VALU_DEP_2)
	v_fma_f16 v2, v2, v4, -v5
	v_cvt_f32_f16_e32 v3, v6
	s_delay_alu instid0(VALU_DEP_2) | instskip(NEXT) | instid1(VALU_DEP_2)
	v_cvt_f32_f16_e32 v4, v2
	v_cvt_f64_f32_e32 v[2:3], v3
	s_delay_alu instid0(VALU_DEP_2) | instskip(NEXT) | instid1(VALU_DEP_2)
	v_cvt_f64_f32_e32 v[4:5], v4
	v_mul_f64_e32 v[2:3], s[8:9], v[2:3]
	s_delay_alu instid0(VALU_DEP_2) | instskip(NEXT) | instid1(VALU_DEP_2)
	v_mul_f64_e32 v[4:5], s[8:9], v[4:5]
	v_and_or_b32 v2, 0x1ff, v3, v2
	s_delay_alu instid0(VALU_DEP_2)
	v_and_or_b32 v4, 0x1ff, v5, v4
	v_lshrrev_b32_e32 v6, 8, v3
	v_bfe_u32 v7, v3, 20, 11
	v_lshrrev_b32_e32 v8, 8, v5
	v_cmp_ne_u32_e32 vcc_lo, 0, v2
	v_bfe_u32 v9, v5, 20, 11
	v_lshrrev_b32_e32 v3, 16, v3
	v_sub_nc_u32_e32 v10, 0x3f1, v7
	v_add_nc_u32_e32 v7, 0xfffffc10, v7
	s_wait_alu 0xfffd
	v_cndmask_b32_e64 v2, 0, 1, vcc_lo
	v_cmp_ne_u32_e32 vcc_lo, 0, v4
	v_lshrrev_b32_e32 v5, 16, v5
	s_delay_alu instid0(VALU_DEP_3) | instskip(SKIP_4) | instid1(VALU_DEP_3)
	v_and_or_b32 v2, 0xffe, v6, v2
	s_wait_alu 0xfffd
	v_cndmask_b32_e64 v4, 0, 1, vcc_lo
	v_sub_nc_u32_e32 v6, 0x3f1, v9
	v_add_nc_u32_e32 v9, 0xfffffc10, v9
	v_and_or_b32 v4, 0xffe, v8, v4
	v_med3_i32 v8, v10, 0, 13
	v_or_b32_e32 v10, 0x1000, v2
	v_med3_i32 v6, v6, 0, 13
	s_delay_alu instid0(VALU_DEP_4) | instskip(NEXT) | instid1(VALU_DEP_3)
	v_or_b32_e32 v11, 0x1000, v4
	v_lshrrev_b32_e32 v12, v8, v10
	s_delay_alu instid0(VALU_DEP_2) | instskip(NEXT) | instid1(VALU_DEP_2)
	v_lshrrev_b32_e32 v13, v6, v11
	v_lshlrev_b32_e32 v8, v8, v12
	s_delay_alu instid0(VALU_DEP_2) | instskip(NEXT) | instid1(VALU_DEP_2)
	v_lshlrev_b32_e32 v6, v6, v13
	v_cmp_ne_u32_e32 vcc_lo, v8, v10
	v_lshl_or_b32 v10, v7, 12, v2
	s_wait_alu 0xfffd
	v_cndmask_b32_e64 v8, 0, 1, vcc_lo
	v_cmp_ne_u32_e32 vcc_lo, v6, v11
	v_lshl_or_b32 v11, v9, 12, v4
	s_delay_alu instid0(VALU_DEP_3) | instskip(SKIP_3) | instid1(VALU_DEP_2)
	v_or_b32_e32 v8, v12, v8
	s_wait_alu 0xfffd
	v_cndmask_b32_e64 v6, 0, 1, vcc_lo
	v_cmp_gt_i32_e32 vcc_lo, 1, v7
	v_or_b32_e32 v6, v13, v6
	s_wait_alu 0xfffd
	v_cndmask_b32_e32 v8, v10, v8, vcc_lo
	v_cmp_gt_i32_e32 vcc_lo, 1, v9
	s_delay_alu instid0(VALU_DEP_2)
	v_and_b32_e32 v10, 7, v8
	s_wait_alu 0xfffd
	v_cndmask_b32_e32 v6, v11, v6, vcc_lo
	v_cmp_ne_u32_e32 vcc_lo, 0, v2
	v_lshrrev_b32_e32 v8, 2, v8
	v_cmp_eq_u32_e64 s0, 3, v10
	s_delay_alu instid0(VALU_DEP_4)
	v_and_b32_e32 v11, 7, v6
	s_wait_alu 0xfffd
	v_cndmask_b32_e64 v2, 0, 1, vcc_lo
	v_cmp_ne_u32_e32 vcc_lo, 0, v4
	v_lshrrev_b32_e32 v6, 2, v6
	v_cmp_lt_i32_e64 s1, 5, v11
	v_cmp_eq_u32_e64 s2, 3, v11
	s_wait_alu 0xfffd
	v_cndmask_b32_e64 v4, 0, 1, vcc_lo
	v_cmp_lt_i32_e32 vcc_lo, 5, v10
	v_lshl_or_b32 v2, v2, 9, 0x7c00
	s_delay_alu instid0(VALU_DEP_3)
	v_lshl_or_b32 v4, v4, 9, 0x7c00
	s_or_b32 vcc_lo, s0, vcc_lo
	s_wait_alu 0xfffe
	v_add_co_ci_u32_e32 v8, vcc_lo, 0, v8, vcc_lo
	s_or_b32 vcc_lo, s2, s1
	s_wait_alu 0xfffe
	v_add_co_ci_u32_e32 v6, vcc_lo, 0, v6, vcc_lo
	v_cmp_gt_i32_e32 vcc_lo, 31, v7
	s_wait_alu 0xfffd
	v_cndmask_b32_e32 v8, 0x7c00, v8, vcc_lo
	v_cmp_gt_i32_e32 vcc_lo, 31, v9
	s_wait_alu 0xfffd
	v_cndmask_b32_e32 v6, 0x7c00, v6, vcc_lo
	v_cmp_eq_u32_e32 vcc_lo, 0x40f, v7
	s_wait_alu 0xfffd
	v_cndmask_b32_e32 v2, v8, v2, vcc_lo
	v_cmp_eq_u32_e32 vcc_lo, 0x40f, v9
	s_delay_alu instid0(VALU_DEP_2)
	v_and_or_b32 v2, 0x8000, v3, v2
	s_wait_alu 0xfffd
	v_cndmask_b32_e32 v4, v6, v4, vcc_lo
	v_add_co_u32 v0, vcc_lo, v0, s4
	s_wait_alu 0xfffd
	v_add_co_ci_u32_e32 v1, vcc_lo, s5, v1, vcc_lo
	s_delay_alu instid0(VALU_DEP_3) | instskip(SKIP_1) | instid1(VALU_DEP_1)
	v_and_or_b32 v3, 0x8000, v5, v4
	v_and_b32_e32 v2, 0xffff, v2
	v_lshl_or_b32 v2, v3, 16, v2
	global_store_b32 v[0:1], v2, off
	global_load_b32 v4, v55, s[12:13] offset:2520
	v_add_nc_u32_e32 v2, 0x800, v55
	ds_load_2addr_b32 v[2:3], v2 offset0:118 offset1:208
	s_wait_dscnt 0x0
	v_lshrrev_b32_e32 v5, 16, v2
	s_wait_loadcnt 0x0
	v_lshrrev_b32_e32 v6, 16, v4
	s_delay_alu instid0(VALU_DEP_1) | instskip(SKIP_1) | instid1(VALU_DEP_2)
	v_mul_f16_e32 v7, v5, v6
	v_mul_f16_e32 v6, v2, v6
	v_fmac_f16_e32 v7, v2, v4
	s_delay_alu instid0(VALU_DEP_2) | instskip(NEXT) | instid1(VALU_DEP_2)
	v_fma_f16 v2, v4, v5, -v6
	v_cvt_f32_f16_e32 v4, v7
	s_delay_alu instid0(VALU_DEP_2) | instskip(NEXT) | instid1(VALU_DEP_2)
	v_cvt_f32_f16_e32 v2, v2
	v_cvt_f64_f32_e32 v[4:5], v4
	s_delay_alu instid0(VALU_DEP_2) | instskip(NEXT) | instid1(VALU_DEP_2)
	v_cvt_f64_f32_e32 v[6:7], v2
	v_mul_f64_e32 v[4:5], s[8:9], v[4:5]
	s_delay_alu instid0(VALU_DEP_2) | instskip(NEXT) | instid1(VALU_DEP_2)
	v_mul_f64_e32 v[6:7], s[8:9], v[6:7]
	v_and_or_b32 v2, 0x1ff, v5, v4
	s_delay_alu instid0(VALU_DEP_2)
	v_and_or_b32 v6, 0x1ff, v7, v6
	v_lshrrev_b32_e32 v4, 8, v5
	v_bfe_u32 v8, v5, 20, 11
	v_lshrrev_b32_e32 v9, 8, v7
	v_cmp_ne_u32_e32 vcc_lo, 0, v2
	v_bfe_u32 v10, v7, 20, 11
	v_lshrrev_b32_e32 v5, 16, v5
	v_sub_nc_u32_e32 v11, 0x3f1, v8
	v_add_nc_u32_e32 v8, 0xfffffc10, v8
	s_wait_alu 0xfffd
	v_cndmask_b32_e64 v2, 0, 1, vcc_lo
	v_cmp_ne_u32_e32 vcc_lo, 0, v6
	v_lshrrev_b32_e32 v7, 16, v7
	s_delay_alu instid0(VALU_DEP_3) | instskip(SKIP_4) | instid1(VALU_DEP_3)
	v_and_or_b32 v2, 0xffe, v4, v2
	s_wait_alu 0xfffd
	v_cndmask_b32_e64 v6, 0, 1, vcc_lo
	v_sub_nc_u32_e32 v4, 0x3f1, v10
	v_add_nc_u32_e32 v10, 0xfffffc10, v10
	v_and_or_b32 v6, 0xffe, v9, v6
	v_med3_i32 v9, v11, 0, 13
	v_or_b32_e32 v11, 0x1000, v2
	v_med3_i32 v4, v4, 0, 13
	s_delay_alu instid0(VALU_DEP_4) | instskip(NEXT) | instid1(VALU_DEP_3)
	v_or_b32_e32 v12, 0x1000, v6
	v_lshrrev_b32_e32 v13, v9, v11
	s_delay_alu instid0(VALU_DEP_2) | instskip(NEXT) | instid1(VALU_DEP_2)
	v_lshrrev_b32_e32 v14, v4, v12
	v_lshlrev_b32_e32 v9, v9, v13
	s_delay_alu instid0(VALU_DEP_2) | instskip(NEXT) | instid1(VALU_DEP_2)
	v_lshlrev_b32_e32 v4, v4, v14
	v_cmp_ne_u32_e32 vcc_lo, v9, v11
	v_lshl_or_b32 v11, v8, 12, v2
	s_wait_alu 0xfffd
	v_cndmask_b32_e64 v9, 0, 1, vcc_lo
	v_cmp_ne_u32_e32 vcc_lo, v4, v12
	v_lshl_or_b32 v12, v10, 12, v6
	s_delay_alu instid0(VALU_DEP_3) | instskip(SKIP_3) | instid1(VALU_DEP_2)
	v_or_b32_e32 v9, v13, v9
	s_wait_alu 0xfffd
	v_cndmask_b32_e64 v4, 0, 1, vcc_lo
	v_cmp_gt_i32_e32 vcc_lo, 1, v8
	v_or_b32_e32 v4, v14, v4
	s_wait_alu 0xfffd
	v_cndmask_b32_e32 v9, v11, v9, vcc_lo
	v_cmp_gt_i32_e32 vcc_lo, 1, v10
	s_wait_alu 0xfffd
	s_delay_alu instid0(VALU_DEP_2) | instskip(SKIP_2) | instid1(VALU_DEP_3)
	v_dual_cndmask_b32 v4, v12, v4 :: v_dual_and_b32 v11, 7, v9
	v_cmp_ne_u32_e32 vcc_lo, 0, v2
	v_lshrrev_b32_e32 v9, 2, v9
	v_cmp_eq_u32_e64 s0, 3, v11
	s_delay_alu instid0(VALU_DEP_4)
	v_and_b32_e32 v12, 7, v4
	s_wait_alu 0xfffd
	v_cndmask_b32_e64 v2, 0, 1, vcc_lo
	v_cmp_ne_u32_e32 vcc_lo, 0, v6
	v_lshrrev_b32_e32 v4, 2, v4
	v_cmp_lt_i32_e64 s1, 5, v12
	v_cmp_eq_u32_e64 s2, 3, v12
	s_wait_alu 0xfffd
	v_cndmask_b32_e64 v6, 0, 1, vcc_lo
	v_cmp_lt_i32_e32 vcc_lo, 5, v11
	v_lshl_or_b32 v2, v2, 9, 0x7c00
	s_delay_alu instid0(VALU_DEP_3)
	v_lshl_or_b32 v6, v6, 9, 0x7c00
	s_or_b32 vcc_lo, s0, vcc_lo
	s_wait_alu 0xfffe
	v_add_co_ci_u32_e32 v9, vcc_lo, 0, v9, vcc_lo
	s_or_b32 vcc_lo, s2, s1
	s_wait_alu 0xfffe
	v_add_co_ci_u32_e32 v4, vcc_lo, 0, v4, vcc_lo
	v_cmp_gt_i32_e32 vcc_lo, 31, v8
	s_wait_alu 0xfffd
	v_cndmask_b32_e32 v9, 0x7c00, v9, vcc_lo
	v_cmp_gt_i32_e32 vcc_lo, 31, v10
	s_wait_alu 0xfffd
	v_cndmask_b32_e32 v4, 0x7c00, v4, vcc_lo
	v_cmp_eq_u32_e32 vcc_lo, 0x40f, v8
	s_wait_alu 0xfffd
	v_cndmask_b32_e32 v2, v9, v2, vcc_lo
	v_cmp_eq_u32_e32 vcc_lo, 0x40f, v10
	s_delay_alu instid0(VALU_DEP_2)
	v_and_or_b32 v2, 0x8000, v5, v2
	s_wait_alu 0xfffd
	v_cndmask_b32_e32 v4, v4, v6, vcc_lo
	v_add_co_u32 v0, vcc_lo, v0, s4
	s_wait_alu 0xfffd
	v_add_co_ci_u32_e32 v1, vcc_lo, s5, v1, vcc_lo
	s_delay_alu instid0(VALU_DEP_3) | instskip(SKIP_1) | instid1(VALU_DEP_1)
	v_and_or_b32 v4, 0x8000, v7, v4
	v_and_b32_e32 v2, 0xffff, v2
	v_lshl_or_b32 v2, v4, 16, v2
	v_lshrrev_b32_e32 v4, 16, v3
	global_store_b32 v[0:1], v2, off
	global_load_b32 v2, v55, s[12:13] offset:2880
	s_wait_loadcnt 0x0
	v_lshrrev_b32_e32 v5, 16, v2
	s_delay_alu instid0(VALU_DEP_1) | instskip(SKIP_1) | instid1(VALU_DEP_2)
	v_mul_f16_e32 v6, v4, v5
	v_mul_f16_e32 v5, v3, v5
	v_fmac_f16_e32 v6, v3, v2
	s_delay_alu instid0(VALU_DEP_2) | instskip(NEXT) | instid1(VALU_DEP_2)
	v_fma_f16 v2, v2, v4, -v5
	v_cvt_f32_f16_e32 v3, v6
	s_delay_alu instid0(VALU_DEP_2) | instskip(NEXT) | instid1(VALU_DEP_2)
	v_cvt_f32_f16_e32 v4, v2
	v_cvt_f64_f32_e32 v[2:3], v3
	s_delay_alu instid0(VALU_DEP_2) | instskip(NEXT) | instid1(VALU_DEP_2)
	v_cvt_f64_f32_e32 v[4:5], v4
	v_mul_f64_e32 v[2:3], s[8:9], v[2:3]
	s_delay_alu instid0(VALU_DEP_2) | instskip(NEXT) | instid1(VALU_DEP_2)
	v_mul_f64_e32 v[4:5], s[8:9], v[4:5]
	v_and_or_b32 v2, 0x1ff, v3, v2
	s_delay_alu instid0(VALU_DEP_2)
	v_and_or_b32 v4, 0x1ff, v5, v4
	v_lshrrev_b32_e32 v6, 8, v3
	v_bfe_u32 v7, v3, 20, 11
	v_lshrrev_b32_e32 v8, 8, v5
	v_cmp_ne_u32_e32 vcc_lo, 0, v2
	v_bfe_u32 v9, v5, 20, 11
	v_lshrrev_b32_e32 v3, 16, v3
	v_sub_nc_u32_e32 v10, 0x3f1, v7
	v_add_nc_u32_e32 v7, 0xfffffc10, v7
	s_wait_alu 0xfffd
	v_cndmask_b32_e64 v2, 0, 1, vcc_lo
	v_cmp_ne_u32_e32 vcc_lo, 0, v4
	v_lshrrev_b32_e32 v5, 16, v5
	s_delay_alu instid0(VALU_DEP_3) | instskip(SKIP_4) | instid1(VALU_DEP_3)
	v_and_or_b32 v2, 0xffe, v6, v2
	s_wait_alu 0xfffd
	v_cndmask_b32_e64 v4, 0, 1, vcc_lo
	v_sub_nc_u32_e32 v6, 0x3f1, v9
	v_add_nc_u32_e32 v9, 0xfffffc10, v9
	v_and_or_b32 v4, 0xffe, v8, v4
	v_med3_i32 v8, v10, 0, 13
	v_or_b32_e32 v10, 0x1000, v2
	v_med3_i32 v6, v6, 0, 13
	s_delay_alu instid0(VALU_DEP_4) | instskip(NEXT) | instid1(VALU_DEP_3)
	v_or_b32_e32 v11, 0x1000, v4
	v_lshrrev_b32_e32 v12, v8, v10
	s_delay_alu instid0(VALU_DEP_2) | instskip(NEXT) | instid1(VALU_DEP_2)
	v_lshrrev_b32_e32 v13, v6, v11
	v_lshlrev_b32_e32 v8, v8, v12
	s_delay_alu instid0(VALU_DEP_2) | instskip(NEXT) | instid1(VALU_DEP_2)
	v_lshlrev_b32_e32 v6, v6, v13
	v_cmp_ne_u32_e32 vcc_lo, v8, v10
	v_lshl_or_b32 v10, v7, 12, v2
	s_wait_alu 0xfffd
	v_cndmask_b32_e64 v8, 0, 1, vcc_lo
	v_cmp_ne_u32_e32 vcc_lo, v6, v11
	v_lshl_or_b32 v11, v9, 12, v4
	s_delay_alu instid0(VALU_DEP_3) | instskip(SKIP_3) | instid1(VALU_DEP_2)
	v_or_b32_e32 v8, v12, v8
	s_wait_alu 0xfffd
	v_cndmask_b32_e64 v6, 0, 1, vcc_lo
	v_cmp_gt_i32_e32 vcc_lo, 1, v7
	v_or_b32_e32 v6, v13, v6
	s_wait_alu 0xfffd
	v_cndmask_b32_e32 v8, v10, v8, vcc_lo
	v_cmp_gt_i32_e32 vcc_lo, 1, v9
	s_delay_alu instid0(VALU_DEP_2)
	v_and_b32_e32 v10, 7, v8
	s_wait_alu 0xfffd
	v_cndmask_b32_e32 v6, v11, v6, vcc_lo
	v_cmp_ne_u32_e32 vcc_lo, 0, v2
	v_lshrrev_b32_e32 v8, 2, v8
	v_cmp_eq_u32_e64 s0, 3, v10
	s_delay_alu instid0(VALU_DEP_4)
	v_and_b32_e32 v11, 7, v6
	s_wait_alu 0xfffd
	v_cndmask_b32_e64 v2, 0, 1, vcc_lo
	v_cmp_ne_u32_e32 vcc_lo, 0, v4
	v_lshrrev_b32_e32 v6, 2, v6
	v_cmp_lt_i32_e64 s1, 5, v11
	v_cmp_eq_u32_e64 s2, 3, v11
	s_wait_alu 0xfffd
	v_cndmask_b32_e64 v4, 0, 1, vcc_lo
	v_cmp_lt_i32_e32 vcc_lo, 5, v10
	v_lshl_or_b32 v2, v2, 9, 0x7c00
	s_delay_alu instid0(VALU_DEP_3)
	v_lshl_or_b32 v4, v4, 9, 0x7c00
	s_or_b32 vcc_lo, s0, vcc_lo
	s_wait_alu 0xfffe
	v_add_co_ci_u32_e32 v8, vcc_lo, 0, v8, vcc_lo
	s_or_b32 vcc_lo, s2, s1
	s_wait_alu 0xfffe
	v_add_co_ci_u32_e32 v6, vcc_lo, 0, v6, vcc_lo
	v_cmp_gt_i32_e32 vcc_lo, 31, v7
	s_wait_alu 0xfffd
	v_cndmask_b32_e32 v8, 0x7c00, v8, vcc_lo
	v_cmp_gt_i32_e32 vcc_lo, 31, v9
	s_wait_alu 0xfffd
	v_cndmask_b32_e32 v6, 0x7c00, v6, vcc_lo
	v_cmp_eq_u32_e32 vcc_lo, 0x40f, v7
	s_wait_alu 0xfffd
	v_cndmask_b32_e32 v2, v8, v2, vcc_lo
	v_cmp_eq_u32_e32 vcc_lo, 0x40f, v9
	s_delay_alu instid0(VALU_DEP_2)
	v_and_or_b32 v2, 0x8000, v3, v2
	s_wait_alu 0xfffd
	v_cndmask_b32_e32 v4, v6, v4, vcc_lo
	v_add_co_u32 v0, vcc_lo, v0, s4
	s_wait_alu 0xfffd
	v_add_co_ci_u32_e32 v1, vcc_lo, s5, v1, vcc_lo
	s_delay_alu instid0(VALU_DEP_3) | instskip(SKIP_1) | instid1(VALU_DEP_1)
	v_and_or_b32 v3, 0x8000, v5, v4
	v_and_b32_e32 v2, 0xffff, v2
	v_lshl_or_b32 v2, v3, 16, v2
	global_store_b32 v[0:1], v2, off
	global_load_b32 v4, v55, s[12:13] offset:3240
	v_add_nc_u32_e32 v2, 0xc00, v55
	ds_load_2addr_b32 v[2:3], v2 offset0:42 offset1:132
	s_wait_dscnt 0x0
	v_lshrrev_b32_e32 v5, 16, v2
	s_wait_loadcnt 0x0
	v_lshrrev_b32_e32 v6, 16, v4
	s_delay_alu instid0(VALU_DEP_1) | instskip(SKIP_1) | instid1(VALU_DEP_2)
	v_mul_f16_e32 v7, v5, v6
	v_mul_f16_e32 v6, v2, v6
	v_fmac_f16_e32 v7, v2, v4
	s_delay_alu instid0(VALU_DEP_2) | instskip(NEXT) | instid1(VALU_DEP_2)
	v_fma_f16 v2, v4, v5, -v6
	v_cvt_f32_f16_e32 v4, v7
	s_delay_alu instid0(VALU_DEP_2) | instskip(NEXT) | instid1(VALU_DEP_2)
	v_cvt_f32_f16_e32 v2, v2
	v_cvt_f64_f32_e32 v[4:5], v4
	s_delay_alu instid0(VALU_DEP_2) | instskip(NEXT) | instid1(VALU_DEP_2)
	v_cvt_f64_f32_e32 v[6:7], v2
	v_mul_f64_e32 v[4:5], s[8:9], v[4:5]
	s_delay_alu instid0(VALU_DEP_2) | instskip(NEXT) | instid1(VALU_DEP_2)
	v_mul_f64_e32 v[6:7], s[8:9], v[6:7]
	v_and_or_b32 v2, 0x1ff, v5, v4
	s_delay_alu instid0(VALU_DEP_2)
	v_and_or_b32 v6, 0x1ff, v7, v6
	v_lshrrev_b32_e32 v4, 8, v5
	v_bfe_u32 v8, v5, 20, 11
	v_lshrrev_b32_e32 v9, 8, v7
	v_cmp_ne_u32_e32 vcc_lo, 0, v2
	v_bfe_u32 v10, v7, 20, 11
	v_lshrrev_b32_e32 v5, 16, v5
	v_sub_nc_u32_e32 v11, 0x3f1, v8
	v_add_nc_u32_e32 v8, 0xfffffc10, v8
	s_wait_alu 0xfffd
	v_cndmask_b32_e64 v2, 0, 1, vcc_lo
	v_cmp_ne_u32_e32 vcc_lo, 0, v6
	v_lshrrev_b32_e32 v7, 16, v7
	s_delay_alu instid0(VALU_DEP_3) | instskip(SKIP_4) | instid1(VALU_DEP_3)
	v_and_or_b32 v2, 0xffe, v4, v2
	s_wait_alu 0xfffd
	v_cndmask_b32_e64 v6, 0, 1, vcc_lo
	v_sub_nc_u32_e32 v4, 0x3f1, v10
	v_add_nc_u32_e32 v10, 0xfffffc10, v10
	v_and_or_b32 v6, 0xffe, v9, v6
	v_med3_i32 v9, v11, 0, 13
	v_or_b32_e32 v11, 0x1000, v2
	v_med3_i32 v4, v4, 0, 13
	s_delay_alu instid0(VALU_DEP_4) | instskip(NEXT) | instid1(VALU_DEP_3)
	v_or_b32_e32 v12, 0x1000, v6
	v_lshrrev_b32_e32 v13, v9, v11
	s_delay_alu instid0(VALU_DEP_2) | instskip(NEXT) | instid1(VALU_DEP_2)
	v_lshrrev_b32_e32 v14, v4, v12
	v_lshlrev_b32_e32 v9, v9, v13
	s_delay_alu instid0(VALU_DEP_2) | instskip(NEXT) | instid1(VALU_DEP_2)
	v_lshlrev_b32_e32 v4, v4, v14
	v_cmp_ne_u32_e32 vcc_lo, v9, v11
	v_lshl_or_b32 v11, v8, 12, v2
	s_wait_alu 0xfffd
	v_cndmask_b32_e64 v9, 0, 1, vcc_lo
	v_cmp_ne_u32_e32 vcc_lo, v4, v12
	v_lshl_or_b32 v12, v10, 12, v6
	s_delay_alu instid0(VALU_DEP_3) | instskip(SKIP_3) | instid1(VALU_DEP_2)
	v_or_b32_e32 v9, v13, v9
	s_wait_alu 0xfffd
	v_cndmask_b32_e64 v4, 0, 1, vcc_lo
	v_cmp_gt_i32_e32 vcc_lo, 1, v8
	v_or_b32_e32 v4, v14, v4
	s_wait_alu 0xfffd
	v_cndmask_b32_e32 v9, v11, v9, vcc_lo
	v_cmp_gt_i32_e32 vcc_lo, 1, v10
	s_wait_alu 0xfffd
	s_delay_alu instid0(VALU_DEP_2) | instskip(SKIP_2) | instid1(VALU_DEP_3)
	v_dual_cndmask_b32 v4, v12, v4 :: v_dual_and_b32 v11, 7, v9
	v_cmp_ne_u32_e32 vcc_lo, 0, v2
	v_lshrrev_b32_e32 v9, 2, v9
	v_cmp_eq_u32_e64 s0, 3, v11
	s_delay_alu instid0(VALU_DEP_4)
	v_and_b32_e32 v12, 7, v4
	s_wait_alu 0xfffd
	v_cndmask_b32_e64 v2, 0, 1, vcc_lo
	v_cmp_ne_u32_e32 vcc_lo, 0, v6
	v_lshrrev_b32_e32 v4, 2, v4
	v_cmp_lt_i32_e64 s1, 5, v12
	v_cmp_eq_u32_e64 s2, 3, v12
	s_wait_alu 0xfffd
	v_cndmask_b32_e64 v6, 0, 1, vcc_lo
	v_cmp_lt_i32_e32 vcc_lo, 5, v11
	v_lshl_or_b32 v2, v2, 9, 0x7c00
	s_delay_alu instid0(VALU_DEP_3)
	v_lshl_or_b32 v6, v6, 9, 0x7c00
	s_or_b32 vcc_lo, s0, vcc_lo
	s_wait_alu 0xfffe
	v_add_co_ci_u32_e32 v9, vcc_lo, 0, v9, vcc_lo
	s_or_b32 vcc_lo, s2, s1
	s_wait_alu 0xfffe
	v_add_co_ci_u32_e32 v4, vcc_lo, 0, v4, vcc_lo
	v_cmp_gt_i32_e32 vcc_lo, 31, v8
	s_wait_alu 0xfffd
	v_cndmask_b32_e32 v9, 0x7c00, v9, vcc_lo
	v_cmp_gt_i32_e32 vcc_lo, 31, v10
	s_wait_alu 0xfffd
	v_cndmask_b32_e32 v4, 0x7c00, v4, vcc_lo
	v_cmp_eq_u32_e32 vcc_lo, 0x40f, v8
	s_wait_alu 0xfffd
	v_cndmask_b32_e32 v2, v9, v2, vcc_lo
	v_cmp_eq_u32_e32 vcc_lo, 0x40f, v10
	s_delay_alu instid0(VALU_DEP_2)
	v_and_or_b32 v2, 0x8000, v5, v2
	s_wait_alu 0xfffd
	v_cndmask_b32_e32 v4, v4, v6, vcc_lo
	v_add_co_u32 v0, vcc_lo, v0, s4
	s_wait_alu 0xfffd
	v_add_co_ci_u32_e32 v1, vcc_lo, s5, v1, vcc_lo
	s_delay_alu instid0(VALU_DEP_3) | instskip(SKIP_1) | instid1(VALU_DEP_1)
	v_and_or_b32 v4, 0x8000, v7, v4
	v_and_b32_e32 v2, 0xffff, v2
	v_lshl_or_b32 v2, v4, 16, v2
	v_lshrrev_b32_e32 v4, 16, v3
	global_store_b32 v[0:1], v2, off
	global_load_b32 v2, v55, s[12:13] offset:3600
	s_wait_loadcnt 0x0
	v_lshrrev_b32_e32 v5, 16, v2
	s_delay_alu instid0(VALU_DEP_1) | instskip(SKIP_1) | instid1(VALU_DEP_2)
	v_mul_f16_e32 v6, v4, v5
	v_mul_f16_e32 v5, v3, v5
	v_fmac_f16_e32 v6, v3, v2
	s_delay_alu instid0(VALU_DEP_2) | instskip(NEXT) | instid1(VALU_DEP_2)
	v_fma_f16 v2, v2, v4, -v5
	v_cvt_f32_f16_e32 v3, v6
	s_delay_alu instid0(VALU_DEP_2) | instskip(NEXT) | instid1(VALU_DEP_2)
	v_cvt_f32_f16_e32 v4, v2
	v_cvt_f64_f32_e32 v[2:3], v3
	s_delay_alu instid0(VALU_DEP_2) | instskip(NEXT) | instid1(VALU_DEP_2)
	v_cvt_f64_f32_e32 v[4:5], v4
	v_mul_f64_e32 v[2:3], s[8:9], v[2:3]
	s_delay_alu instid0(VALU_DEP_2) | instskip(NEXT) | instid1(VALU_DEP_2)
	v_mul_f64_e32 v[4:5], s[8:9], v[4:5]
	v_and_or_b32 v2, 0x1ff, v3, v2
	s_delay_alu instid0(VALU_DEP_2)
	v_and_or_b32 v4, 0x1ff, v5, v4
	v_lshrrev_b32_e32 v6, 8, v3
	v_bfe_u32 v7, v3, 20, 11
	v_lshrrev_b32_e32 v8, 8, v5
	v_cmp_ne_u32_e32 vcc_lo, 0, v2
	v_bfe_u32 v9, v5, 20, 11
	v_lshrrev_b32_e32 v3, 16, v3
	v_sub_nc_u32_e32 v10, 0x3f1, v7
	v_add_nc_u32_e32 v7, 0xfffffc10, v7
	s_wait_alu 0xfffd
	v_cndmask_b32_e64 v2, 0, 1, vcc_lo
	v_cmp_ne_u32_e32 vcc_lo, 0, v4
	v_lshrrev_b32_e32 v5, 16, v5
	s_delay_alu instid0(VALU_DEP_3) | instskip(SKIP_4) | instid1(VALU_DEP_3)
	v_and_or_b32 v2, 0xffe, v6, v2
	s_wait_alu 0xfffd
	v_cndmask_b32_e64 v4, 0, 1, vcc_lo
	v_sub_nc_u32_e32 v6, 0x3f1, v9
	v_add_nc_u32_e32 v9, 0xfffffc10, v9
	v_and_or_b32 v4, 0xffe, v8, v4
	v_med3_i32 v8, v10, 0, 13
	v_or_b32_e32 v10, 0x1000, v2
	v_med3_i32 v6, v6, 0, 13
	s_delay_alu instid0(VALU_DEP_4) | instskip(NEXT) | instid1(VALU_DEP_3)
	v_or_b32_e32 v11, 0x1000, v4
	v_lshrrev_b32_e32 v12, v8, v10
	s_delay_alu instid0(VALU_DEP_2) | instskip(NEXT) | instid1(VALU_DEP_2)
	v_lshrrev_b32_e32 v13, v6, v11
	v_lshlrev_b32_e32 v8, v8, v12
	s_delay_alu instid0(VALU_DEP_2) | instskip(NEXT) | instid1(VALU_DEP_2)
	v_lshlrev_b32_e32 v6, v6, v13
	v_cmp_ne_u32_e32 vcc_lo, v8, v10
	v_lshl_or_b32 v10, v7, 12, v2
	s_wait_alu 0xfffd
	v_cndmask_b32_e64 v8, 0, 1, vcc_lo
	v_cmp_ne_u32_e32 vcc_lo, v6, v11
	v_lshl_or_b32 v11, v9, 12, v4
	s_delay_alu instid0(VALU_DEP_3) | instskip(SKIP_3) | instid1(VALU_DEP_2)
	v_or_b32_e32 v8, v12, v8
	s_wait_alu 0xfffd
	v_cndmask_b32_e64 v6, 0, 1, vcc_lo
	v_cmp_gt_i32_e32 vcc_lo, 1, v7
	v_or_b32_e32 v6, v13, v6
	s_wait_alu 0xfffd
	v_cndmask_b32_e32 v8, v10, v8, vcc_lo
	v_cmp_gt_i32_e32 vcc_lo, 1, v9
	s_delay_alu instid0(VALU_DEP_2)
	v_and_b32_e32 v10, 7, v8
	s_wait_alu 0xfffd
	v_cndmask_b32_e32 v6, v11, v6, vcc_lo
	v_cmp_ne_u32_e32 vcc_lo, 0, v2
	v_lshrrev_b32_e32 v8, 2, v8
	v_cmp_eq_u32_e64 s0, 3, v10
	s_delay_alu instid0(VALU_DEP_4)
	v_and_b32_e32 v11, 7, v6
	s_wait_alu 0xfffd
	v_cndmask_b32_e64 v2, 0, 1, vcc_lo
	v_cmp_ne_u32_e32 vcc_lo, 0, v4
	v_lshrrev_b32_e32 v6, 2, v6
	v_cmp_lt_i32_e64 s1, 5, v11
	v_cmp_eq_u32_e64 s2, 3, v11
	s_wait_alu 0xfffd
	v_cndmask_b32_e64 v4, 0, 1, vcc_lo
	v_cmp_lt_i32_e32 vcc_lo, 5, v10
	v_lshl_or_b32 v2, v2, 9, 0x7c00
	s_delay_alu instid0(VALU_DEP_3)
	v_lshl_or_b32 v4, v4, 9, 0x7c00
	s_or_b32 vcc_lo, s0, vcc_lo
	s_wait_alu 0xfffe
	v_add_co_ci_u32_e32 v8, vcc_lo, 0, v8, vcc_lo
	s_or_b32 vcc_lo, s2, s1
	s_wait_alu 0xfffe
	v_add_co_ci_u32_e32 v6, vcc_lo, 0, v6, vcc_lo
	v_cmp_gt_i32_e32 vcc_lo, 31, v7
	s_wait_alu 0xfffd
	v_cndmask_b32_e32 v8, 0x7c00, v8, vcc_lo
	v_cmp_gt_i32_e32 vcc_lo, 31, v9
	s_wait_alu 0xfffd
	v_cndmask_b32_e32 v6, 0x7c00, v6, vcc_lo
	v_cmp_eq_u32_e32 vcc_lo, 0x40f, v7
	s_wait_alu 0xfffd
	v_cndmask_b32_e32 v2, v8, v2, vcc_lo
	v_cmp_eq_u32_e32 vcc_lo, 0x40f, v9
	s_delay_alu instid0(VALU_DEP_2)
	v_and_or_b32 v2, 0x8000, v3, v2
	s_wait_alu 0xfffd
	v_cndmask_b32_e32 v4, v6, v4, vcc_lo
	v_add_co_u32 v0, vcc_lo, v0, s4
	s_wait_alu 0xfffd
	v_add_co_ci_u32_e32 v1, vcc_lo, s5, v1, vcc_lo
	s_delay_alu instid0(VALU_DEP_3) | instskip(SKIP_1) | instid1(VALU_DEP_1)
	v_and_or_b32 v3, 0x8000, v5, v4
	v_and_b32_e32 v2, 0xffff, v2
	v_lshl_or_b32 v2, v3, 16, v2
	global_store_b32 v[0:1], v2, off
	global_load_b32 v4, v55, s[12:13] offset:3960
	v_add_nc_u32_e32 v2, 0xe00, v55
	ds_load_2addr_b32 v[2:3], v2 offset0:94 offset1:184
	s_wait_dscnt 0x0
	v_lshrrev_b32_e32 v5, 16, v2
	s_wait_loadcnt 0x0
	v_lshrrev_b32_e32 v6, 16, v4
	s_delay_alu instid0(VALU_DEP_1) | instskip(SKIP_1) | instid1(VALU_DEP_2)
	v_mul_f16_e32 v7, v5, v6
	v_mul_f16_e32 v6, v2, v6
	v_fmac_f16_e32 v7, v2, v4
	s_delay_alu instid0(VALU_DEP_2) | instskip(NEXT) | instid1(VALU_DEP_2)
	v_fma_f16 v2, v4, v5, -v6
	v_cvt_f32_f16_e32 v4, v7
	s_delay_alu instid0(VALU_DEP_2) | instskip(NEXT) | instid1(VALU_DEP_2)
	v_cvt_f32_f16_e32 v2, v2
	v_cvt_f64_f32_e32 v[4:5], v4
	s_delay_alu instid0(VALU_DEP_2) | instskip(NEXT) | instid1(VALU_DEP_2)
	v_cvt_f64_f32_e32 v[6:7], v2
	v_mul_f64_e32 v[4:5], s[8:9], v[4:5]
	s_delay_alu instid0(VALU_DEP_2) | instskip(NEXT) | instid1(VALU_DEP_2)
	v_mul_f64_e32 v[6:7], s[8:9], v[6:7]
	v_and_or_b32 v2, 0x1ff, v5, v4
	s_delay_alu instid0(VALU_DEP_2)
	v_and_or_b32 v6, 0x1ff, v7, v6
	v_lshrrev_b32_e32 v4, 8, v5
	v_bfe_u32 v8, v5, 20, 11
	v_lshrrev_b32_e32 v9, 8, v7
	v_cmp_ne_u32_e32 vcc_lo, 0, v2
	v_bfe_u32 v10, v7, 20, 11
	v_lshrrev_b32_e32 v5, 16, v5
	v_sub_nc_u32_e32 v11, 0x3f1, v8
	v_add_nc_u32_e32 v8, 0xfffffc10, v8
	s_wait_alu 0xfffd
	v_cndmask_b32_e64 v2, 0, 1, vcc_lo
	v_cmp_ne_u32_e32 vcc_lo, 0, v6
	v_lshrrev_b32_e32 v7, 16, v7
	s_delay_alu instid0(VALU_DEP_3) | instskip(SKIP_4) | instid1(VALU_DEP_3)
	v_and_or_b32 v2, 0xffe, v4, v2
	s_wait_alu 0xfffd
	v_cndmask_b32_e64 v6, 0, 1, vcc_lo
	v_sub_nc_u32_e32 v4, 0x3f1, v10
	v_add_nc_u32_e32 v10, 0xfffffc10, v10
	v_and_or_b32 v6, 0xffe, v9, v6
	v_med3_i32 v9, v11, 0, 13
	v_or_b32_e32 v11, 0x1000, v2
	v_med3_i32 v4, v4, 0, 13
	s_delay_alu instid0(VALU_DEP_4) | instskip(NEXT) | instid1(VALU_DEP_3)
	v_or_b32_e32 v12, 0x1000, v6
	v_lshrrev_b32_e32 v13, v9, v11
	s_delay_alu instid0(VALU_DEP_2) | instskip(NEXT) | instid1(VALU_DEP_2)
	v_lshrrev_b32_e32 v14, v4, v12
	v_lshlrev_b32_e32 v9, v9, v13
	s_delay_alu instid0(VALU_DEP_2) | instskip(NEXT) | instid1(VALU_DEP_2)
	v_lshlrev_b32_e32 v4, v4, v14
	v_cmp_ne_u32_e32 vcc_lo, v9, v11
	v_lshl_or_b32 v11, v8, 12, v2
	s_wait_alu 0xfffd
	v_cndmask_b32_e64 v9, 0, 1, vcc_lo
	v_cmp_ne_u32_e32 vcc_lo, v4, v12
	v_lshl_or_b32 v12, v10, 12, v6
	s_delay_alu instid0(VALU_DEP_3) | instskip(SKIP_3) | instid1(VALU_DEP_2)
	v_or_b32_e32 v9, v13, v9
	s_wait_alu 0xfffd
	v_cndmask_b32_e64 v4, 0, 1, vcc_lo
	v_cmp_gt_i32_e32 vcc_lo, 1, v8
	v_or_b32_e32 v4, v14, v4
	s_wait_alu 0xfffd
	v_cndmask_b32_e32 v9, v11, v9, vcc_lo
	v_cmp_gt_i32_e32 vcc_lo, 1, v10
	s_wait_alu 0xfffd
	s_delay_alu instid0(VALU_DEP_2) | instskip(SKIP_2) | instid1(VALU_DEP_3)
	v_dual_cndmask_b32 v4, v12, v4 :: v_dual_and_b32 v11, 7, v9
	v_cmp_ne_u32_e32 vcc_lo, 0, v2
	v_lshrrev_b32_e32 v9, 2, v9
	v_cmp_eq_u32_e64 s0, 3, v11
	s_delay_alu instid0(VALU_DEP_4)
	v_and_b32_e32 v12, 7, v4
	s_wait_alu 0xfffd
	v_cndmask_b32_e64 v2, 0, 1, vcc_lo
	v_cmp_ne_u32_e32 vcc_lo, 0, v6
	v_lshrrev_b32_e32 v4, 2, v4
	v_cmp_lt_i32_e64 s1, 5, v12
	v_cmp_eq_u32_e64 s2, 3, v12
	s_wait_alu 0xfffd
	v_cndmask_b32_e64 v6, 0, 1, vcc_lo
	v_cmp_lt_i32_e32 vcc_lo, 5, v11
	v_lshl_or_b32 v2, v2, 9, 0x7c00
	s_delay_alu instid0(VALU_DEP_3)
	v_lshl_or_b32 v6, v6, 9, 0x7c00
	s_or_b32 vcc_lo, s0, vcc_lo
	s_wait_alu 0xfffe
	v_add_co_ci_u32_e32 v9, vcc_lo, 0, v9, vcc_lo
	s_or_b32 vcc_lo, s2, s1
	s_wait_alu 0xfffe
	v_add_co_ci_u32_e32 v4, vcc_lo, 0, v4, vcc_lo
	v_cmp_gt_i32_e32 vcc_lo, 31, v8
	s_wait_alu 0xfffd
	v_cndmask_b32_e32 v9, 0x7c00, v9, vcc_lo
	v_cmp_gt_i32_e32 vcc_lo, 31, v10
	s_wait_alu 0xfffd
	v_cndmask_b32_e32 v4, 0x7c00, v4, vcc_lo
	v_cmp_eq_u32_e32 vcc_lo, 0x40f, v8
	s_wait_alu 0xfffd
	v_cndmask_b32_e32 v2, v9, v2, vcc_lo
	v_cmp_eq_u32_e32 vcc_lo, 0x40f, v10
	s_delay_alu instid0(VALU_DEP_2)
	v_and_or_b32 v2, 0x8000, v5, v2
	s_wait_alu 0xfffd
	v_cndmask_b32_e32 v4, v4, v6, vcc_lo
	v_add_co_u32 v0, vcc_lo, v0, s4
	s_wait_alu 0xfffd
	v_add_co_ci_u32_e32 v1, vcc_lo, s5, v1, vcc_lo
	s_delay_alu instid0(VALU_DEP_3) | instskip(SKIP_1) | instid1(VALU_DEP_1)
	v_and_or_b32 v4, 0x8000, v7, v4
	v_and_b32_e32 v2, 0xffff, v2
	v_lshl_or_b32 v2, v4, 16, v2
	v_lshrrev_b32_e32 v4, 16, v3
	global_store_b32 v[0:1], v2, off
	global_load_b32 v2, v55, s[12:13] offset:4320
	s_wait_loadcnt 0x0
	v_lshrrev_b32_e32 v5, 16, v2
	s_delay_alu instid0(VALU_DEP_1) | instskip(SKIP_1) | instid1(VALU_DEP_2)
	v_mul_f16_e32 v6, v4, v5
	v_mul_f16_e32 v5, v3, v5
	v_fmac_f16_e32 v6, v3, v2
	s_delay_alu instid0(VALU_DEP_2) | instskip(NEXT) | instid1(VALU_DEP_2)
	v_fma_f16 v2, v2, v4, -v5
	v_cvt_f32_f16_e32 v3, v6
	s_delay_alu instid0(VALU_DEP_2) | instskip(NEXT) | instid1(VALU_DEP_2)
	v_cvt_f32_f16_e32 v4, v2
	v_cvt_f64_f32_e32 v[2:3], v3
	s_delay_alu instid0(VALU_DEP_2) | instskip(NEXT) | instid1(VALU_DEP_2)
	v_cvt_f64_f32_e32 v[4:5], v4
	v_mul_f64_e32 v[2:3], s[8:9], v[2:3]
	s_delay_alu instid0(VALU_DEP_2) | instskip(NEXT) | instid1(VALU_DEP_2)
	v_mul_f64_e32 v[4:5], s[8:9], v[4:5]
	v_and_or_b32 v2, 0x1ff, v3, v2
	s_delay_alu instid0(VALU_DEP_2)
	v_and_or_b32 v4, 0x1ff, v5, v4
	v_lshrrev_b32_e32 v6, 8, v3
	v_bfe_u32 v7, v3, 20, 11
	v_lshrrev_b32_e32 v8, 8, v5
	v_cmp_ne_u32_e32 vcc_lo, 0, v2
	v_bfe_u32 v9, v5, 20, 11
	v_lshrrev_b32_e32 v3, 16, v3
	v_sub_nc_u32_e32 v10, 0x3f1, v7
	v_add_nc_u32_e32 v7, 0xfffffc10, v7
	s_wait_alu 0xfffd
	v_cndmask_b32_e64 v2, 0, 1, vcc_lo
	v_cmp_ne_u32_e32 vcc_lo, 0, v4
	v_lshrrev_b32_e32 v5, 16, v5
	s_delay_alu instid0(VALU_DEP_3) | instskip(SKIP_4) | instid1(VALU_DEP_3)
	v_and_or_b32 v2, 0xffe, v6, v2
	s_wait_alu 0xfffd
	v_cndmask_b32_e64 v4, 0, 1, vcc_lo
	v_sub_nc_u32_e32 v6, 0x3f1, v9
	v_add_nc_u32_e32 v9, 0xfffffc10, v9
	v_and_or_b32 v4, 0xffe, v8, v4
	v_med3_i32 v8, v10, 0, 13
	v_or_b32_e32 v10, 0x1000, v2
	v_med3_i32 v6, v6, 0, 13
	s_delay_alu instid0(VALU_DEP_4) | instskip(NEXT) | instid1(VALU_DEP_3)
	v_or_b32_e32 v11, 0x1000, v4
	v_lshrrev_b32_e32 v12, v8, v10
	s_delay_alu instid0(VALU_DEP_2) | instskip(NEXT) | instid1(VALU_DEP_2)
	v_lshrrev_b32_e32 v13, v6, v11
	v_lshlrev_b32_e32 v8, v8, v12
	s_delay_alu instid0(VALU_DEP_2) | instskip(NEXT) | instid1(VALU_DEP_2)
	v_lshlrev_b32_e32 v6, v6, v13
	v_cmp_ne_u32_e32 vcc_lo, v8, v10
	v_lshl_or_b32 v10, v7, 12, v2
	s_wait_alu 0xfffd
	v_cndmask_b32_e64 v8, 0, 1, vcc_lo
	v_cmp_ne_u32_e32 vcc_lo, v6, v11
	v_lshl_or_b32 v11, v9, 12, v4
	s_delay_alu instid0(VALU_DEP_3) | instskip(SKIP_3) | instid1(VALU_DEP_2)
	v_or_b32_e32 v8, v12, v8
	s_wait_alu 0xfffd
	v_cndmask_b32_e64 v6, 0, 1, vcc_lo
	v_cmp_gt_i32_e32 vcc_lo, 1, v7
	v_or_b32_e32 v6, v13, v6
	s_wait_alu 0xfffd
	v_cndmask_b32_e32 v8, v10, v8, vcc_lo
	v_cmp_gt_i32_e32 vcc_lo, 1, v9
	s_delay_alu instid0(VALU_DEP_2)
	v_and_b32_e32 v10, 7, v8
	s_wait_alu 0xfffd
	v_cndmask_b32_e32 v6, v11, v6, vcc_lo
	v_cmp_ne_u32_e32 vcc_lo, 0, v2
	v_lshrrev_b32_e32 v8, 2, v8
	v_cmp_eq_u32_e64 s0, 3, v10
	s_delay_alu instid0(VALU_DEP_4)
	v_and_b32_e32 v11, 7, v6
	s_wait_alu 0xfffd
	v_cndmask_b32_e64 v2, 0, 1, vcc_lo
	v_cmp_ne_u32_e32 vcc_lo, 0, v4
	v_lshrrev_b32_e32 v6, 2, v6
	v_cmp_lt_i32_e64 s1, 5, v11
	v_cmp_eq_u32_e64 s2, 3, v11
	s_wait_alu 0xfffd
	v_cndmask_b32_e64 v4, 0, 1, vcc_lo
	v_cmp_lt_i32_e32 vcc_lo, 5, v10
	v_lshl_or_b32 v2, v2, 9, 0x7c00
	s_delay_alu instid0(VALU_DEP_3)
	v_lshl_or_b32 v4, v4, 9, 0x7c00
	s_or_b32 vcc_lo, s0, vcc_lo
	s_wait_alu 0xfffe
	v_add_co_ci_u32_e32 v8, vcc_lo, 0, v8, vcc_lo
	s_or_b32 vcc_lo, s2, s1
	s_wait_alu 0xfffe
	v_add_co_ci_u32_e32 v6, vcc_lo, 0, v6, vcc_lo
	v_cmp_gt_i32_e32 vcc_lo, 31, v7
	s_wait_alu 0xfffd
	v_cndmask_b32_e32 v8, 0x7c00, v8, vcc_lo
	v_cmp_gt_i32_e32 vcc_lo, 31, v9
	s_wait_alu 0xfffd
	v_cndmask_b32_e32 v6, 0x7c00, v6, vcc_lo
	v_cmp_eq_u32_e32 vcc_lo, 0x40f, v7
	s_wait_alu 0xfffd
	v_cndmask_b32_e32 v2, v8, v2, vcc_lo
	v_cmp_eq_u32_e32 vcc_lo, 0x40f, v9
	s_delay_alu instid0(VALU_DEP_2)
	v_and_or_b32 v2, 0x8000, v3, v2
	s_wait_alu 0xfffd
	v_cndmask_b32_e32 v4, v6, v4, vcc_lo
	v_add_co_u32 v0, vcc_lo, v0, s4
	s_wait_alu 0xfffd
	v_add_co_ci_u32_e32 v1, vcc_lo, s5, v1, vcc_lo
	s_delay_alu instid0(VALU_DEP_3) | instskip(SKIP_1) | instid1(VALU_DEP_1)
	v_and_or_b32 v3, 0x8000, v5, v4
	v_and_b32_e32 v2, 0xffff, v2
	v_lshl_or_b32 v2, v3, 16, v2
	global_store_b32 v[0:1], v2, off
	global_load_b32 v4, v55, s[12:13] offset:4680
	v_add_nc_u32_e32 v2, 0x1000, v55
	ds_load_2addr_b32 v[2:3], v2 offset0:146 offset1:236
	s_wait_dscnt 0x0
	v_lshrrev_b32_e32 v5, 16, v2
	s_wait_loadcnt 0x0
	v_lshrrev_b32_e32 v6, 16, v4
	s_delay_alu instid0(VALU_DEP_1) | instskip(SKIP_1) | instid1(VALU_DEP_2)
	v_mul_f16_e32 v7, v5, v6
	v_mul_f16_e32 v6, v2, v6
	v_fmac_f16_e32 v7, v2, v4
	s_delay_alu instid0(VALU_DEP_2) | instskip(NEXT) | instid1(VALU_DEP_2)
	v_fma_f16 v2, v4, v5, -v6
	v_cvt_f32_f16_e32 v4, v7
	s_delay_alu instid0(VALU_DEP_2) | instskip(NEXT) | instid1(VALU_DEP_2)
	v_cvt_f32_f16_e32 v2, v2
	v_cvt_f64_f32_e32 v[4:5], v4
	s_delay_alu instid0(VALU_DEP_2) | instskip(NEXT) | instid1(VALU_DEP_2)
	v_cvt_f64_f32_e32 v[6:7], v2
	v_mul_f64_e32 v[4:5], s[8:9], v[4:5]
	s_delay_alu instid0(VALU_DEP_2) | instskip(NEXT) | instid1(VALU_DEP_2)
	v_mul_f64_e32 v[6:7], s[8:9], v[6:7]
	v_and_or_b32 v2, 0x1ff, v5, v4
	s_delay_alu instid0(VALU_DEP_2)
	v_and_or_b32 v6, 0x1ff, v7, v6
	v_lshrrev_b32_e32 v4, 8, v5
	v_bfe_u32 v8, v5, 20, 11
	v_lshrrev_b32_e32 v9, 8, v7
	v_cmp_ne_u32_e32 vcc_lo, 0, v2
	v_bfe_u32 v10, v7, 20, 11
	v_lshrrev_b32_e32 v5, 16, v5
	v_sub_nc_u32_e32 v11, 0x3f1, v8
	v_add_nc_u32_e32 v8, 0xfffffc10, v8
	s_wait_alu 0xfffd
	v_cndmask_b32_e64 v2, 0, 1, vcc_lo
	v_cmp_ne_u32_e32 vcc_lo, 0, v6
	v_lshrrev_b32_e32 v7, 16, v7
	s_delay_alu instid0(VALU_DEP_3) | instskip(SKIP_4) | instid1(VALU_DEP_3)
	v_and_or_b32 v2, 0xffe, v4, v2
	s_wait_alu 0xfffd
	v_cndmask_b32_e64 v6, 0, 1, vcc_lo
	v_sub_nc_u32_e32 v4, 0x3f1, v10
	v_add_nc_u32_e32 v10, 0xfffffc10, v10
	v_and_or_b32 v6, 0xffe, v9, v6
	v_med3_i32 v9, v11, 0, 13
	v_or_b32_e32 v11, 0x1000, v2
	v_med3_i32 v4, v4, 0, 13
	s_delay_alu instid0(VALU_DEP_4) | instskip(NEXT) | instid1(VALU_DEP_3)
	v_or_b32_e32 v12, 0x1000, v6
	v_lshrrev_b32_e32 v13, v9, v11
	s_delay_alu instid0(VALU_DEP_2) | instskip(NEXT) | instid1(VALU_DEP_2)
	v_lshrrev_b32_e32 v14, v4, v12
	v_lshlrev_b32_e32 v9, v9, v13
	s_delay_alu instid0(VALU_DEP_2) | instskip(NEXT) | instid1(VALU_DEP_2)
	v_lshlrev_b32_e32 v4, v4, v14
	v_cmp_ne_u32_e32 vcc_lo, v9, v11
	v_lshl_or_b32 v11, v8, 12, v2
	s_wait_alu 0xfffd
	v_cndmask_b32_e64 v9, 0, 1, vcc_lo
	v_cmp_ne_u32_e32 vcc_lo, v4, v12
	v_lshl_or_b32 v12, v10, 12, v6
	s_delay_alu instid0(VALU_DEP_3) | instskip(SKIP_3) | instid1(VALU_DEP_2)
	v_or_b32_e32 v9, v13, v9
	s_wait_alu 0xfffd
	v_cndmask_b32_e64 v4, 0, 1, vcc_lo
	v_cmp_gt_i32_e32 vcc_lo, 1, v8
	v_or_b32_e32 v4, v14, v4
	s_wait_alu 0xfffd
	v_cndmask_b32_e32 v9, v11, v9, vcc_lo
	v_cmp_gt_i32_e32 vcc_lo, 1, v10
	s_wait_alu 0xfffd
	s_delay_alu instid0(VALU_DEP_2) | instskip(SKIP_2) | instid1(VALU_DEP_3)
	v_dual_cndmask_b32 v4, v12, v4 :: v_dual_and_b32 v11, 7, v9
	v_cmp_ne_u32_e32 vcc_lo, 0, v2
	v_lshrrev_b32_e32 v9, 2, v9
	v_cmp_eq_u32_e64 s0, 3, v11
	s_delay_alu instid0(VALU_DEP_4)
	v_and_b32_e32 v12, 7, v4
	s_wait_alu 0xfffd
	v_cndmask_b32_e64 v2, 0, 1, vcc_lo
	v_cmp_ne_u32_e32 vcc_lo, 0, v6
	v_lshrrev_b32_e32 v4, 2, v4
	v_cmp_lt_i32_e64 s1, 5, v12
	v_cmp_eq_u32_e64 s2, 3, v12
	s_wait_alu 0xfffd
	v_cndmask_b32_e64 v6, 0, 1, vcc_lo
	v_cmp_lt_i32_e32 vcc_lo, 5, v11
	v_lshl_or_b32 v2, v2, 9, 0x7c00
	s_delay_alu instid0(VALU_DEP_3)
	v_lshl_or_b32 v6, v6, 9, 0x7c00
	s_or_b32 vcc_lo, s0, vcc_lo
	s_wait_alu 0xfffe
	v_add_co_ci_u32_e32 v9, vcc_lo, 0, v9, vcc_lo
	s_or_b32 vcc_lo, s2, s1
	s_wait_alu 0xfffe
	v_add_co_ci_u32_e32 v4, vcc_lo, 0, v4, vcc_lo
	v_cmp_gt_i32_e32 vcc_lo, 31, v8
	s_wait_alu 0xfffd
	v_cndmask_b32_e32 v9, 0x7c00, v9, vcc_lo
	v_cmp_gt_i32_e32 vcc_lo, 31, v10
	s_wait_alu 0xfffd
	v_cndmask_b32_e32 v4, 0x7c00, v4, vcc_lo
	v_cmp_eq_u32_e32 vcc_lo, 0x40f, v8
	s_wait_alu 0xfffd
	v_cndmask_b32_e32 v2, v9, v2, vcc_lo
	v_cmp_eq_u32_e32 vcc_lo, 0x40f, v10
	s_delay_alu instid0(VALU_DEP_2)
	v_and_or_b32 v2, 0x8000, v5, v2
	s_wait_alu 0xfffd
	v_cndmask_b32_e32 v4, v4, v6, vcc_lo
	v_add_co_u32 v0, vcc_lo, v0, s4
	s_wait_alu 0xfffd
	v_add_co_ci_u32_e32 v1, vcc_lo, s5, v1, vcc_lo
	s_delay_alu instid0(VALU_DEP_3) | instskip(SKIP_1) | instid1(VALU_DEP_1)
	v_and_or_b32 v4, 0x8000, v7, v4
	v_and_b32_e32 v2, 0xffff, v2
	v_lshl_or_b32 v2, v4, 16, v2
	v_lshrrev_b32_e32 v4, 16, v3
	global_store_b32 v[0:1], v2, off
	global_load_b32 v2, v55, s[12:13] offset:5040
	s_wait_loadcnt 0x0
	v_lshrrev_b32_e32 v5, 16, v2
	s_delay_alu instid0(VALU_DEP_1) | instskip(SKIP_1) | instid1(VALU_DEP_2)
	v_mul_f16_e32 v6, v4, v5
	v_mul_f16_e32 v5, v3, v5
	v_fmac_f16_e32 v6, v3, v2
	s_delay_alu instid0(VALU_DEP_2) | instskip(NEXT) | instid1(VALU_DEP_2)
	v_fma_f16 v2, v2, v4, -v5
	v_cvt_f32_f16_e32 v3, v6
	s_delay_alu instid0(VALU_DEP_2) | instskip(NEXT) | instid1(VALU_DEP_2)
	v_cvt_f32_f16_e32 v4, v2
	v_cvt_f64_f32_e32 v[2:3], v3
	s_delay_alu instid0(VALU_DEP_2) | instskip(NEXT) | instid1(VALU_DEP_2)
	v_cvt_f64_f32_e32 v[4:5], v4
	v_mul_f64_e32 v[2:3], s[8:9], v[2:3]
	s_delay_alu instid0(VALU_DEP_2) | instskip(NEXT) | instid1(VALU_DEP_2)
	v_mul_f64_e32 v[4:5], s[8:9], v[4:5]
	v_and_or_b32 v2, 0x1ff, v3, v2
	s_delay_alu instid0(VALU_DEP_2)
	v_and_or_b32 v4, 0x1ff, v5, v4
	v_lshrrev_b32_e32 v6, 8, v3
	v_bfe_u32 v7, v3, 20, 11
	v_lshrrev_b32_e32 v8, 8, v5
	v_cmp_ne_u32_e32 vcc_lo, 0, v2
	v_bfe_u32 v9, v5, 20, 11
	v_lshrrev_b32_e32 v3, 16, v3
	v_sub_nc_u32_e32 v10, 0x3f1, v7
	v_add_nc_u32_e32 v7, 0xfffffc10, v7
	s_wait_alu 0xfffd
	v_cndmask_b32_e64 v2, 0, 1, vcc_lo
	v_cmp_ne_u32_e32 vcc_lo, 0, v4
	v_lshrrev_b32_e32 v5, 16, v5
	s_delay_alu instid0(VALU_DEP_3) | instskip(SKIP_4) | instid1(VALU_DEP_3)
	v_and_or_b32 v2, 0xffe, v6, v2
	s_wait_alu 0xfffd
	v_cndmask_b32_e64 v4, 0, 1, vcc_lo
	v_sub_nc_u32_e32 v6, 0x3f1, v9
	v_add_nc_u32_e32 v9, 0xfffffc10, v9
	v_and_or_b32 v4, 0xffe, v8, v4
	v_med3_i32 v8, v10, 0, 13
	v_or_b32_e32 v10, 0x1000, v2
	v_med3_i32 v6, v6, 0, 13
	s_delay_alu instid0(VALU_DEP_4) | instskip(NEXT) | instid1(VALU_DEP_3)
	v_or_b32_e32 v11, 0x1000, v4
	v_lshrrev_b32_e32 v12, v8, v10
	s_delay_alu instid0(VALU_DEP_2) | instskip(NEXT) | instid1(VALU_DEP_2)
	v_lshrrev_b32_e32 v13, v6, v11
	v_lshlrev_b32_e32 v8, v8, v12
	s_delay_alu instid0(VALU_DEP_2) | instskip(NEXT) | instid1(VALU_DEP_2)
	v_lshlrev_b32_e32 v6, v6, v13
	v_cmp_ne_u32_e32 vcc_lo, v8, v10
	v_lshl_or_b32 v10, v7, 12, v2
	s_wait_alu 0xfffd
	v_cndmask_b32_e64 v8, 0, 1, vcc_lo
	v_cmp_ne_u32_e32 vcc_lo, v6, v11
	v_lshl_or_b32 v11, v9, 12, v4
	s_delay_alu instid0(VALU_DEP_3) | instskip(SKIP_3) | instid1(VALU_DEP_2)
	v_or_b32_e32 v8, v12, v8
	s_wait_alu 0xfffd
	v_cndmask_b32_e64 v6, 0, 1, vcc_lo
	v_cmp_gt_i32_e32 vcc_lo, 1, v7
	v_or_b32_e32 v6, v13, v6
	s_wait_alu 0xfffd
	v_cndmask_b32_e32 v8, v10, v8, vcc_lo
	v_cmp_gt_i32_e32 vcc_lo, 1, v9
	s_delay_alu instid0(VALU_DEP_2)
	v_and_b32_e32 v10, 7, v8
	s_wait_alu 0xfffd
	v_cndmask_b32_e32 v6, v11, v6, vcc_lo
	v_cmp_ne_u32_e32 vcc_lo, 0, v2
	v_lshrrev_b32_e32 v8, 2, v8
	v_cmp_eq_u32_e64 s0, 3, v10
	s_delay_alu instid0(VALU_DEP_4)
	v_and_b32_e32 v11, 7, v6
	s_wait_alu 0xfffd
	v_cndmask_b32_e64 v2, 0, 1, vcc_lo
	v_cmp_ne_u32_e32 vcc_lo, 0, v4
	v_lshrrev_b32_e32 v6, 2, v6
	v_cmp_lt_i32_e64 s1, 5, v11
	v_cmp_eq_u32_e64 s2, 3, v11
	s_wait_alu 0xfffd
	v_cndmask_b32_e64 v4, 0, 1, vcc_lo
	v_cmp_lt_i32_e32 vcc_lo, 5, v10
	v_lshl_or_b32 v2, v2, 9, 0x7c00
	s_delay_alu instid0(VALU_DEP_3)
	v_lshl_or_b32 v4, v4, 9, 0x7c00
	s_or_b32 vcc_lo, s0, vcc_lo
	s_wait_alu 0xfffe
	v_add_co_ci_u32_e32 v8, vcc_lo, 0, v8, vcc_lo
	s_or_b32 vcc_lo, s2, s1
	s_wait_alu 0xfffe
	v_add_co_ci_u32_e32 v6, vcc_lo, 0, v6, vcc_lo
	v_cmp_gt_i32_e32 vcc_lo, 31, v7
	s_wait_alu 0xfffd
	v_cndmask_b32_e32 v8, 0x7c00, v8, vcc_lo
	v_cmp_gt_i32_e32 vcc_lo, 31, v9
	s_wait_alu 0xfffd
	v_cndmask_b32_e32 v6, 0x7c00, v6, vcc_lo
	v_cmp_eq_u32_e32 vcc_lo, 0x40f, v7
	s_wait_alu 0xfffd
	v_cndmask_b32_e32 v2, v8, v2, vcc_lo
	v_cmp_eq_u32_e32 vcc_lo, 0x40f, v9
	s_delay_alu instid0(VALU_DEP_2)
	v_and_or_b32 v2, 0x8000, v3, v2
	s_wait_alu 0xfffd
	v_cndmask_b32_e32 v4, v6, v4, vcc_lo
	v_add_co_u32 v0, vcc_lo, v0, s4
	s_wait_alu 0xfffd
	v_add_co_ci_u32_e32 v1, vcc_lo, s5, v1, vcc_lo
	s_delay_alu instid0(VALU_DEP_3) | instskip(SKIP_1) | instid1(VALU_DEP_1)
	v_and_or_b32 v3, 0x8000, v5, v4
	v_and_b32_e32 v2, 0xffff, v2
	v_lshl_or_b32 v2, v3, 16, v2
	global_store_b32 v[0:1], v2, off
	global_load_b32 v4, v55, s[12:13] offset:5400
	v_add_nc_u32_e32 v2, 0x1400, v55
	ds_load_2addr_b32 v[2:3], v2 offset0:70 offset1:160
	s_wait_dscnt 0x0
	v_lshrrev_b32_e32 v5, 16, v2
	s_wait_loadcnt 0x0
	v_lshrrev_b32_e32 v6, 16, v4
	s_delay_alu instid0(VALU_DEP_1) | instskip(SKIP_1) | instid1(VALU_DEP_2)
	v_mul_f16_e32 v7, v5, v6
	v_mul_f16_e32 v6, v2, v6
	v_fmac_f16_e32 v7, v2, v4
	s_delay_alu instid0(VALU_DEP_2) | instskip(NEXT) | instid1(VALU_DEP_2)
	v_fma_f16 v2, v4, v5, -v6
	v_cvt_f32_f16_e32 v4, v7
	s_delay_alu instid0(VALU_DEP_2) | instskip(NEXT) | instid1(VALU_DEP_2)
	v_cvt_f32_f16_e32 v2, v2
	v_cvt_f64_f32_e32 v[4:5], v4
	s_delay_alu instid0(VALU_DEP_2) | instskip(NEXT) | instid1(VALU_DEP_2)
	v_cvt_f64_f32_e32 v[6:7], v2
	v_mul_f64_e32 v[4:5], s[8:9], v[4:5]
	s_delay_alu instid0(VALU_DEP_2) | instskip(NEXT) | instid1(VALU_DEP_2)
	v_mul_f64_e32 v[6:7], s[8:9], v[6:7]
	v_and_or_b32 v2, 0x1ff, v5, v4
	s_delay_alu instid0(VALU_DEP_2)
	v_and_or_b32 v6, 0x1ff, v7, v6
	v_lshrrev_b32_e32 v4, 8, v5
	v_bfe_u32 v8, v5, 20, 11
	v_lshrrev_b32_e32 v9, 8, v7
	v_cmp_ne_u32_e32 vcc_lo, 0, v2
	v_bfe_u32 v10, v7, 20, 11
	v_lshrrev_b32_e32 v5, 16, v5
	v_sub_nc_u32_e32 v11, 0x3f1, v8
	v_add_nc_u32_e32 v8, 0xfffffc10, v8
	s_wait_alu 0xfffd
	v_cndmask_b32_e64 v2, 0, 1, vcc_lo
	v_cmp_ne_u32_e32 vcc_lo, 0, v6
	v_lshrrev_b32_e32 v7, 16, v7
	s_delay_alu instid0(VALU_DEP_3) | instskip(SKIP_4) | instid1(VALU_DEP_3)
	v_and_or_b32 v2, 0xffe, v4, v2
	s_wait_alu 0xfffd
	v_cndmask_b32_e64 v6, 0, 1, vcc_lo
	v_sub_nc_u32_e32 v4, 0x3f1, v10
	v_add_nc_u32_e32 v10, 0xfffffc10, v10
	v_and_or_b32 v6, 0xffe, v9, v6
	v_med3_i32 v9, v11, 0, 13
	v_or_b32_e32 v11, 0x1000, v2
	v_med3_i32 v4, v4, 0, 13
	s_delay_alu instid0(VALU_DEP_4) | instskip(NEXT) | instid1(VALU_DEP_3)
	v_or_b32_e32 v12, 0x1000, v6
	v_lshrrev_b32_e32 v13, v9, v11
	s_delay_alu instid0(VALU_DEP_2) | instskip(NEXT) | instid1(VALU_DEP_2)
	v_lshrrev_b32_e32 v14, v4, v12
	v_lshlrev_b32_e32 v9, v9, v13
	s_delay_alu instid0(VALU_DEP_2) | instskip(NEXT) | instid1(VALU_DEP_2)
	v_lshlrev_b32_e32 v4, v4, v14
	v_cmp_ne_u32_e32 vcc_lo, v9, v11
	v_lshl_or_b32 v11, v8, 12, v2
	s_wait_alu 0xfffd
	v_cndmask_b32_e64 v9, 0, 1, vcc_lo
	v_cmp_ne_u32_e32 vcc_lo, v4, v12
	v_lshl_or_b32 v12, v10, 12, v6
	s_delay_alu instid0(VALU_DEP_3) | instskip(SKIP_3) | instid1(VALU_DEP_2)
	v_or_b32_e32 v9, v13, v9
	s_wait_alu 0xfffd
	v_cndmask_b32_e64 v4, 0, 1, vcc_lo
	v_cmp_gt_i32_e32 vcc_lo, 1, v8
	v_or_b32_e32 v4, v14, v4
	s_wait_alu 0xfffd
	v_cndmask_b32_e32 v9, v11, v9, vcc_lo
	v_cmp_gt_i32_e32 vcc_lo, 1, v10
	s_wait_alu 0xfffd
	s_delay_alu instid0(VALU_DEP_2) | instskip(SKIP_2) | instid1(VALU_DEP_3)
	v_dual_cndmask_b32 v4, v12, v4 :: v_dual_and_b32 v11, 7, v9
	v_cmp_ne_u32_e32 vcc_lo, 0, v2
	v_lshrrev_b32_e32 v9, 2, v9
	v_cmp_eq_u32_e64 s0, 3, v11
	s_delay_alu instid0(VALU_DEP_4)
	v_and_b32_e32 v12, 7, v4
	s_wait_alu 0xfffd
	v_cndmask_b32_e64 v2, 0, 1, vcc_lo
	v_cmp_ne_u32_e32 vcc_lo, 0, v6
	v_lshrrev_b32_e32 v4, 2, v4
	v_cmp_lt_i32_e64 s1, 5, v12
	v_cmp_eq_u32_e64 s2, 3, v12
	s_wait_alu 0xfffd
	v_cndmask_b32_e64 v6, 0, 1, vcc_lo
	v_cmp_lt_i32_e32 vcc_lo, 5, v11
	v_lshl_or_b32 v2, v2, 9, 0x7c00
	s_delay_alu instid0(VALU_DEP_3)
	v_lshl_or_b32 v6, v6, 9, 0x7c00
	s_or_b32 vcc_lo, s0, vcc_lo
	s_wait_alu 0xfffe
	v_add_co_ci_u32_e32 v9, vcc_lo, 0, v9, vcc_lo
	s_or_b32 vcc_lo, s2, s1
	s_wait_alu 0xfffe
	v_add_co_ci_u32_e32 v4, vcc_lo, 0, v4, vcc_lo
	v_cmp_gt_i32_e32 vcc_lo, 31, v8
	s_wait_alu 0xfffd
	v_cndmask_b32_e32 v9, 0x7c00, v9, vcc_lo
	v_cmp_gt_i32_e32 vcc_lo, 31, v10
	s_wait_alu 0xfffd
	v_cndmask_b32_e32 v4, 0x7c00, v4, vcc_lo
	v_cmp_eq_u32_e32 vcc_lo, 0x40f, v8
	s_wait_alu 0xfffd
	v_cndmask_b32_e32 v2, v9, v2, vcc_lo
	v_cmp_eq_u32_e32 vcc_lo, 0x40f, v10
	s_delay_alu instid0(VALU_DEP_2)
	v_and_or_b32 v2, 0x8000, v5, v2
	s_wait_alu 0xfffd
	v_cndmask_b32_e32 v4, v4, v6, vcc_lo
	v_add_co_u32 v0, vcc_lo, v0, s4
	s_wait_alu 0xfffd
	v_add_co_ci_u32_e32 v1, vcc_lo, s5, v1, vcc_lo
	s_delay_alu instid0(VALU_DEP_3) | instskip(SKIP_1) | instid1(VALU_DEP_1)
	v_and_or_b32 v4, 0x8000, v7, v4
	v_and_b32_e32 v2, 0xffff, v2
	v_lshl_or_b32 v2, v4, 16, v2
	v_lshrrev_b32_e32 v4, 16, v3
	global_store_b32 v[0:1], v2, off
	global_load_b32 v2, v55, s[12:13] offset:5760
	s_wait_loadcnt 0x0
	v_lshrrev_b32_e32 v5, 16, v2
	s_delay_alu instid0(VALU_DEP_1) | instskip(SKIP_1) | instid1(VALU_DEP_2)
	v_mul_f16_e32 v6, v4, v5
	v_mul_f16_e32 v5, v3, v5
	v_fmac_f16_e32 v6, v3, v2
	s_delay_alu instid0(VALU_DEP_2) | instskip(NEXT) | instid1(VALU_DEP_2)
	v_fma_f16 v2, v2, v4, -v5
	v_cvt_f32_f16_e32 v3, v6
	s_delay_alu instid0(VALU_DEP_2) | instskip(NEXT) | instid1(VALU_DEP_2)
	v_cvt_f32_f16_e32 v4, v2
	v_cvt_f64_f32_e32 v[2:3], v3
	s_delay_alu instid0(VALU_DEP_2) | instskip(NEXT) | instid1(VALU_DEP_2)
	v_cvt_f64_f32_e32 v[4:5], v4
	v_mul_f64_e32 v[2:3], s[8:9], v[2:3]
	s_delay_alu instid0(VALU_DEP_2) | instskip(NEXT) | instid1(VALU_DEP_2)
	v_mul_f64_e32 v[4:5], s[8:9], v[4:5]
	v_and_or_b32 v2, 0x1ff, v3, v2
	s_delay_alu instid0(VALU_DEP_2)
	v_and_or_b32 v4, 0x1ff, v5, v4
	v_lshrrev_b32_e32 v6, 8, v3
	v_bfe_u32 v7, v3, 20, 11
	v_lshrrev_b32_e32 v8, 8, v5
	v_cmp_ne_u32_e32 vcc_lo, 0, v2
	v_bfe_u32 v9, v5, 20, 11
	v_lshrrev_b32_e32 v3, 16, v3
	v_sub_nc_u32_e32 v10, 0x3f1, v7
	v_add_nc_u32_e32 v7, 0xfffffc10, v7
	s_wait_alu 0xfffd
	v_cndmask_b32_e64 v2, 0, 1, vcc_lo
	v_cmp_ne_u32_e32 vcc_lo, 0, v4
	v_lshrrev_b32_e32 v5, 16, v5
	s_delay_alu instid0(VALU_DEP_3) | instskip(SKIP_4) | instid1(VALU_DEP_3)
	v_and_or_b32 v2, 0xffe, v6, v2
	s_wait_alu 0xfffd
	v_cndmask_b32_e64 v4, 0, 1, vcc_lo
	v_sub_nc_u32_e32 v6, 0x3f1, v9
	v_add_nc_u32_e32 v9, 0xfffffc10, v9
	v_and_or_b32 v4, 0xffe, v8, v4
	v_med3_i32 v8, v10, 0, 13
	v_or_b32_e32 v10, 0x1000, v2
	v_med3_i32 v6, v6, 0, 13
	s_delay_alu instid0(VALU_DEP_4) | instskip(NEXT) | instid1(VALU_DEP_3)
	v_or_b32_e32 v11, 0x1000, v4
	v_lshrrev_b32_e32 v12, v8, v10
	s_delay_alu instid0(VALU_DEP_2) | instskip(NEXT) | instid1(VALU_DEP_2)
	v_lshrrev_b32_e32 v13, v6, v11
	v_lshlrev_b32_e32 v8, v8, v12
	s_delay_alu instid0(VALU_DEP_2) | instskip(NEXT) | instid1(VALU_DEP_2)
	v_lshlrev_b32_e32 v6, v6, v13
	v_cmp_ne_u32_e32 vcc_lo, v8, v10
	v_lshl_or_b32 v10, v7, 12, v2
	s_wait_alu 0xfffd
	v_cndmask_b32_e64 v8, 0, 1, vcc_lo
	v_cmp_ne_u32_e32 vcc_lo, v6, v11
	v_lshl_or_b32 v11, v9, 12, v4
	s_delay_alu instid0(VALU_DEP_3) | instskip(SKIP_3) | instid1(VALU_DEP_2)
	v_or_b32_e32 v8, v12, v8
	s_wait_alu 0xfffd
	v_cndmask_b32_e64 v6, 0, 1, vcc_lo
	v_cmp_gt_i32_e32 vcc_lo, 1, v7
	v_or_b32_e32 v6, v13, v6
	s_wait_alu 0xfffd
	v_cndmask_b32_e32 v8, v10, v8, vcc_lo
	v_cmp_gt_i32_e32 vcc_lo, 1, v9
	s_delay_alu instid0(VALU_DEP_2)
	v_and_b32_e32 v10, 7, v8
	s_wait_alu 0xfffd
	v_cndmask_b32_e32 v6, v11, v6, vcc_lo
	v_cmp_ne_u32_e32 vcc_lo, 0, v2
	v_lshrrev_b32_e32 v8, 2, v8
	v_cmp_eq_u32_e64 s0, 3, v10
	s_delay_alu instid0(VALU_DEP_4)
	v_and_b32_e32 v11, 7, v6
	s_wait_alu 0xfffd
	v_cndmask_b32_e64 v2, 0, 1, vcc_lo
	v_cmp_ne_u32_e32 vcc_lo, 0, v4
	v_lshrrev_b32_e32 v6, 2, v6
	v_cmp_lt_i32_e64 s1, 5, v11
	v_cmp_eq_u32_e64 s2, 3, v11
	s_wait_alu 0xfffd
	v_cndmask_b32_e64 v4, 0, 1, vcc_lo
	v_cmp_lt_i32_e32 vcc_lo, 5, v10
	v_lshl_or_b32 v2, v2, 9, 0x7c00
	s_delay_alu instid0(VALU_DEP_3)
	v_lshl_or_b32 v4, v4, 9, 0x7c00
	s_or_b32 vcc_lo, s0, vcc_lo
	s_wait_alu 0xfffe
	v_add_co_ci_u32_e32 v8, vcc_lo, 0, v8, vcc_lo
	s_or_b32 vcc_lo, s2, s1
	s_wait_alu 0xfffe
	v_add_co_ci_u32_e32 v6, vcc_lo, 0, v6, vcc_lo
	v_cmp_gt_i32_e32 vcc_lo, 31, v7
	s_wait_alu 0xfffd
	v_cndmask_b32_e32 v8, 0x7c00, v8, vcc_lo
	v_cmp_gt_i32_e32 vcc_lo, 31, v9
	s_wait_alu 0xfffd
	v_cndmask_b32_e32 v6, 0x7c00, v6, vcc_lo
	v_cmp_eq_u32_e32 vcc_lo, 0x40f, v7
	s_wait_alu 0xfffd
	v_cndmask_b32_e32 v2, v8, v2, vcc_lo
	v_cmp_eq_u32_e32 vcc_lo, 0x40f, v9
	s_delay_alu instid0(VALU_DEP_2)
	v_and_or_b32 v2, 0x8000, v3, v2
	s_wait_alu 0xfffd
	v_cndmask_b32_e32 v4, v6, v4, vcc_lo
	v_add_co_u32 v0, vcc_lo, v0, s4
	s_wait_alu 0xfffd
	v_add_co_ci_u32_e32 v1, vcc_lo, s5, v1, vcc_lo
	s_delay_alu instid0(VALU_DEP_3) | instskip(SKIP_1) | instid1(VALU_DEP_1)
	v_and_or_b32 v3, 0x8000, v5, v4
	v_and_b32_e32 v2, 0xffff, v2
	v_lshl_or_b32 v2, v3, 16, v2
	global_store_b32 v[0:1], v2, off
.LBB0_23:
	s_nop 0
	s_sendmsg sendmsg(MSG_DEALLOC_VGPRS)
	s_endpgm
	.section	.rodata,"a",@progbits
	.p2align	6, 0x0
	.amdhsa_kernel bluestein_single_back_len1530_dim1_half_op_CI_CI
		.amdhsa_group_segment_fixed_size 6120
		.amdhsa_private_segment_fixed_size 36
		.amdhsa_kernarg_size 104
		.amdhsa_user_sgpr_count 2
		.amdhsa_user_sgpr_dispatch_ptr 0
		.amdhsa_user_sgpr_queue_ptr 0
		.amdhsa_user_sgpr_kernarg_segment_ptr 1
		.amdhsa_user_sgpr_dispatch_id 0
		.amdhsa_user_sgpr_private_segment_size 0
		.amdhsa_wavefront_size32 1
		.amdhsa_uses_dynamic_stack 0
		.amdhsa_enable_private_segment 1
		.amdhsa_system_sgpr_workgroup_id_x 1
		.amdhsa_system_sgpr_workgroup_id_y 0
		.amdhsa_system_sgpr_workgroup_id_z 0
		.amdhsa_system_sgpr_workgroup_info 0
		.amdhsa_system_vgpr_workitem_id 0
		.amdhsa_next_free_vgpr 256
		.amdhsa_next_free_sgpr 16
		.amdhsa_reserve_vcc 1
		.amdhsa_float_round_mode_32 0
		.amdhsa_float_round_mode_16_64 0
		.amdhsa_float_denorm_mode_32 3
		.amdhsa_float_denorm_mode_16_64 3
		.amdhsa_fp16_overflow 0
		.amdhsa_workgroup_processor_mode 1
		.amdhsa_memory_ordered 1
		.amdhsa_forward_progress 0
		.amdhsa_round_robin_scheduling 0
		.amdhsa_exception_fp_ieee_invalid_op 0
		.amdhsa_exception_fp_denorm_src 0
		.amdhsa_exception_fp_ieee_div_zero 0
		.amdhsa_exception_fp_ieee_overflow 0
		.amdhsa_exception_fp_ieee_underflow 0
		.amdhsa_exception_fp_ieee_inexact 0
		.amdhsa_exception_int_div_zero 0
	.end_amdhsa_kernel
	.text
.Lfunc_end0:
	.size	bluestein_single_back_len1530_dim1_half_op_CI_CI, .Lfunc_end0-bluestein_single_back_len1530_dim1_half_op_CI_CI
                                        ; -- End function
	.section	.AMDGPU.csdata,"",@progbits
; Kernel info:
; codeLenInByte = 39776
; NumSgprs: 18
; NumVgprs: 256
; ScratchSize: 36
; MemoryBound: 0
; FloatMode: 240
; IeeeMode: 1
; LDSByteSize: 6120 bytes/workgroup (compile time only)
; SGPRBlocks: 2
; VGPRBlocks: 31
; NumSGPRsForWavesPerEU: 18
; NumVGPRsForWavesPerEU: 256
; Occupancy: 5
; WaveLimiterHint : 1
; COMPUTE_PGM_RSRC2:SCRATCH_EN: 1
; COMPUTE_PGM_RSRC2:USER_SGPR: 2
; COMPUTE_PGM_RSRC2:TRAP_HANDLER: 0
; COMPUTE_PGM_RSRC2:TGID_X_EN: 1
; COMPUTE_PGM_RSRC2:TGID_Y_EN: 0
; COMPUTE_PGM_RSRC2:TGID_Z_EN: 0
; COMPUTE_PGM_RSRC2:TIDIG_COMP_CNT: 0
	.text
	.p2alignl 7, 3214868480
	.fill 96, 4, 3214868480
	.type	__hip_cuid_4a4e4f45f90b75b3,@object ; @__hip_cuid_4a4e4f45f90b75b3
	.section	.bss,"aw",@nobits
	.globl	__hip_cuid_4a4e4f45f90b75b3
__hip_cuid_4a4e4f45f90b75b3:
	.byte	0                               ; 0x0
	.size	__hip_cuid_4a4e4f45f90b75b3, 1

	.ident	"AMD clang version 19.0.0git (https://github.com/RadeonOpenCompute/llvm-project roc-6.4.0 25133 c7fe45cf4b819c5991fe208aaa96edf142730f1d)"
	.section	".note.GNU-stack","",@progbits
	.addrsig
	.addrsig_sym __hip_cuid_4a4e4f45f90b75b3
	.amdgpu_metadata
---
amdhsa.kernels:
  - .args:
      - .actual_access:  read_only
        .address_space:  global
        .offset:         0
        .size:           8
        .value_kind:     global_buffer
      - .actual_access:  read_only
        .address_space:  global
        .offset:         8
        .size:           8
        .value_kind:     global_buffer
      - .actual_access:  read_only
        .address_space:  global
        .offset:         16
        .size:           8
        .value_kind:     global_buffer
      - .actual_access:  read_only
        .address_space:  global
        .offset:         24
        .size:           8
        .value_kind:     global_buffer
      - .actual_access:  read_only
        .address_space:  global
        .offset:         32
        .size:           8
        .value_kind:     global_buffer
      - .offset:         40
        .size:           8
        .value_kind:     by_value
      - .address_space:  global
        .offset:         48
        .size:           8
        .value_kind:     global_buffer
      - .address_space:  global
        .offset:         56
        .size:           8
        .value_kind:     global_buffer
      - .address_space:  global
        .offset:         64
        .size:           8
        .value_kind:     global_buffer
      - .address_space:  global
        .offset:         72
        .size:           8
        .value_kind:     global_buffer
      - .offset:         80
        .size:           4
        .value_kind:     by_value
      - .address_space:  global
        .offset:         88
        .size:           8
        .value_kind:     global_buffer
      - .address_space:  global
        .offset:         96
        .size:           8
        .value_kind:     global_buffer
    .group_segment_fixed_size: 6120
    .kernarg_segment_align: 8
    .kernarg_segment_size: 104
    .language:       OpenCL C
    .language_version:
      - 2
      - 0
    .max_flat_workgroup_size: 102
    .name:           bluestein_single_back_len1530_dim1_half_op_CI_CI
    .private_segment_fixed_size: 36
    .sgpr_count:     18
    .sgpr_spill_count: 0
    .symbol:         bluestein_single_back_len1530_dim1_half_op_CI_CI.kd
    .uniform_work_group_size: 1
    .uses_dynamic_stack: false
    .vgpr_count:     256
    .vgpr_spill_count: 8
    .wavefront_size: 32
    .workgroup_processor_mode: 1
amdhsa.target:   amdgcn-amd-amdhsa--gfx1201
amdhsa.version:
  - 1
  - 2
...

	.end_amdgpu_metadata
